;; amdgpu-corpus repo=ROCm/rocFFT kind=compiled arch=gfx906 opt=O3
	.text
	.amdgcn_target "amdgcn-amd-amdhsa--gfx906"
	.amdhsa_code_object_version 6
	.protected	fft_rtc_fwd_len867_factors_17_17_3_wgs_51_tpt_51_halfLds_dp_op_CI_CI_unitstride_sbrr_dirReg ; -- Begin function fft_rtc_fwd_len867_factors_17_17_3_wgs_51_tpt_51_halfLds_dp_op_CI_CI_unitstride_sbrr_dirReg
	.globl	fft_rtc_fwd_len867_factors_17_17_3_wgs_51_tpt_51_halfLds_dp_op_CI_CI_unitstride_sbrr_dirReg
	.p2align	8
	.type	fft_rtc_fwd_len867_factors_17_17_3_wgs_51_tpt_51_halfLds_dp_op_CI_CI_unitstride_sbrr_dirReg,@function
fft_rtc_fwd_len867_factors_17_17_3_wgs_51_tpt_51_halfLds_dp_op_CI_CI_unitstride_sbrr_dirReg: ; @fft_rtc_fwd_len867_factors_17_17_3_wgs_51_tpt_51_halfLds_dp_op_CI_CI_unitstride_sbrr_dirReg
; %bb.0:
	s_load_dwordx4 s[12:15], s[4:5], 0x58
	s_load_dwordx4 s[8:11], s[4:5], 0x0
	;; [unrolled: 1-line block ×3, first 2 shown]
	v_mul_u32_u24_e32 v1, 0x506, v0
	v_add_u32_sdwa v6, s6, v1 dst_sel:DWORD dst_unused:UNUSED_PAD src0_sel:DWORD src1_sel:WORD_1
	v_mov_b32_e32 v1, 0
	s_waitcnt lgkmcnt(0)
	v_cmp_lt_u64_e64 s[0:1], s[10:11], 2
	v_mov_b32_e32 v4, 0
	v_mov_b32_e32 v7, v1
	s_and_b64 vcc, exec, s[0:1]
	v_mov_b32_e32 v5, 0
	s_cbranch_vccnz .LBB0_8
; %bb.1:
	s_load_dwordx2 s[0:1], s[4:5], 0x10
	s_add_u32 s2, s18, 8
	s_addc_u32 s3, s19, 0
	s_add_u32 s6, s16, 8
	v_mov_b32_e32 v4, 0
	s_addc_u32 s7, s17, 0
	v_mov_b32_e32 v5, 0
	s_waitcnt lgkmcnt(0)
	s_add_u32 s20, s0, 8
	v_mov_b32_e32 v69, v5
	s_addc_u32 s21, s1, 0
	s_mov_b64 s[22:23], 1
	v_mov_b32_e32 v68, v4
.LBB0_2:                                ; =>This Inner Loop Header: Depth=1
	s_load_dwordx2 s[24:25], s[20:21], 0x0
                                        ; implicit-def: $vgpr70_vgpr71
	s_waitcnt lgkmcnt(0)
	v_or_b32_e32 v2, s25, v7
	v_cmp_ne_u64_e32 vcc, 0, v[1:2]
	s_and_saveexec_b64 s[0:1], vcc
	s_xor_b64 s[26:27], exec, s[0:1]
	s_cbranch_execz .LBB0_4
; %bb.3:                                ;   in Loop: Header=BB0_2 Depth=1
	v_cvt_f32_u32_e32 v2, s24
	v_cvt_f32_u32_e32 v3, s25
	s_sub_u32 s0, 0, s24
	s_subb_u32 s1, 0, s25
	v_mac_f32_e32 v2, 0x4f800000, v3
	v_rcp_f32_e32 v2, v2
	v_mul_f32_e32 v2, 0x5f7ffffc, v2
	v_mul_f32_e32 v3, 0x2f800000, v2
	v_trunc_f32_e32 v3, v3
	v_mac_f32_e32 v2, 0xcf800000, v3
	v_cvt_u32_f32_e32 v3, v3
	v_cvt_u32_f32_e32 v2, v2
	v_mul_lo_u32 v8, s0, v3
	v_mul_hi_u32 v9, s0, v2
	v_mul_lo_u32 v11, s1, v2
	v_mul_lo_u32 v10, s0, v2
	v_add_u32_e32 v8, v9, v8
	v_add_u32_e32 v8, v8, v11
	v_mul_hi_u32 v9, v2, v10
	v_mul_lo_u32 v11, v2, v8
	v_mul_hi_u32 v13, v2, v8
	v_mul_hi_u32 v12, v3, v10
	v_mul_lo_u32 v10, v3, v10
	v_mul_hi_u32 v14, v3, v8
	v_add_co_u32_e32 v9, vcc, v9, v11
	v_addc_co_u32_e32 v11, vcc, 0, v13, vcc
	v_mul_lo_u32 v8, v3, v8
	v_add_co_u32_e32 v9, vcc, v9, v10
	v_addc_co_u32_e32 v9, vcc, v11, v12, vcc
	v_addc_co_u32_e32 v10, vcc, 0, v14, vcc
	v_add_co_u32_e32 v8, vcc, v9, v8
	v_addc_co_u32_e32 v9, vcc, 0, v10, vcc
	v_add_co_u32_e32 v2, vcc, v2, v8
	v_addc_co_u32_e32 v3, vcc, v3, v9, vcc
	v_mul_lo_u32 v8, s0, v3
	v_mul_hi_u32 v9, s0, v2
	v_mul_lo_u32 v10, s1, v2
	v_mul_lo_u32 v11, s0, v2
	v_add_u32_e32 v8, v9, v8
	v_add_u32_e32 v8, v8, v10
	v_mul_lo_u32 v12, v2, v8
	v_mul_hi_u32 v13, v2, v11
	v_mul_hi_u32 v14, v2, v8
	v_mul_hi_u32 v10, v3, v11
	v_mul_lo_u32 v11, v3, v11
	v_mul_hi_u32 v9, v3, v8
	v_add_co_u32_e32 v12, vcc, v13, v12
	v_addc_co_u32_e32 v13, vcc, 0, v14, vcc
	v_mul_lo_u32 v8, v3, v8
	v_add_co_u32_e32 v11, vcc, v12, v11
	v_addc_co_u32_e32 v10, vcc, v13, v10, vcc
	v_addc_co_u32_e32 v9, vcc, 0, v9, vcc
	v_add_co_u32_e32 v8, vcc, v10, v8
	v_addc_co_u32_e32 v9, vcc, 0, v9, vcc
	v_add_co_u32_e32 v8, vcc, v2, v8
	v_addc_co_u32_e32 v9, vcc, v3, v9, vcc
	v_mad_u64_u32 v[2:3], s[0:1], v6, v9, 0
	v_mul_hi_u32 v10, v6, v8
	v_add_co_u32_e32 v10, vcc, v10, v2
	v_addc_co_u32_e32 v11, vcc, 0, v3, vcc
	v_mad_u64_u32 v[2:3], s[0:1], v7, v8, 0
	v_mad_u64_u32 v[8:9], s[0:1], v7, v9, 0
	v_add_co_u32_e32 v2, vcc, v10, v2
	v_addc_co_u32_e32 v2, vcc, v11, v3, vcc
	v_addc_co_u32_e32 v3, vcc, 0, v9, vcc
	v_add_co_u32_e32 v8, vcc, v2, v8
	v_addc_co_u32_e32 v9, vcc, 0, v3, vcc
	v_mul_lo_u32 v10, s25, v8
	v_mul_lo_u32 v11, s24, v9
	v_mad_u64_u32 v[2:3], s[0:1], s24, v8, 0
	v_add3_u32 v3, v3, v11, v10
	v_sub_u32_e32 v10, v7, v3
	v_mov_b32_e32 v11, s25
	v_sub_co_u32_e32 v2, vcc, v6, v2
	v_subb_co_u32_e64 v10, s[0:1], v10, v11, vcc
	v_subrev_co_u32_e64 v11, s[0:1], s24, v2
	v_subbrev_co_u32_e64 v10, s[0:1], 0, v10, s[0:1]
	v_cmp_le_u32_e64 s[0:1], s25, v10
	v_cndmask_b32_e64 v12, 0, -1, s[0:1]
	v_cmp_le_u32_e64 s[0:1], s24, v11
	v_cndmask_b32_e64 v11, 0, -1, s[0:1]
	v_cmp_eq_u32_e64 s[0:1], s25, v10
	v_cndmask_b32_e64 v10, v12, v11, s[0:1]
	v_add_co_u32_e64 v11, s[0:1], 2, v8
	v_addc_co_u32_e64 v12, s[0:1], 0, v9, s[0:1]
	v_add_co_u32_e64 v13, s[0:1], 1, v8
	v_addc_co_u32_e64 v14, s[0:1], 0, v9, s[0:1]
	v_subb_co_u32_e32 v3, vcc, v7, v3, vcc
	v_cmp_ne_u32_e64 s[0:1], 0, v10
	v_cmp_le_u32_e32 vcc, s25, v3
	v_cndmask_b32_e64 v10, v14, v12, s[0:1]
	v_cndmask_b32_e64 v12, 0, -1, vcc
	v_cmp_le_u32_e32 vcc, s24, v2
	v_cndmask_b32_e64 v2, 0, -1, vcc
	v_cmp_eq_u32_e32 vcc, s25, v3
	v_cndmask_b32_e32 v2, v12, v2, vcc
	v_cmp_ne_u32_e32 vcc, 0, v2
	v_cndmask_b32_e64 v2, v13, v11, s[0:1]
	v_cndmask_b32_e32 v71, v9, v10, vcc
	v_cndmask_b32_e32 v70, v8, v2, vcc
.LBB0_4:                                ;   in Loop: Header=BB0_2 Depth=1
	s_andn2_saveexec_b64 s[0:1], s[26:27]
	s_cbranch_execz .LBB0_6
; %bb.5:                                ;   in Loop: Header=BB0_2 Depth=1
	v_cvt_f32_u32_e32 v2, s24
	s_sub_i32 s26, 0, s24
	v_mov_b32_e32 v71, v1
	v_rcp_iflag_f32_e32 v2, v2
	v_mul_f32_e32 v2, 0x4f7ffffe, v2
	v_cvt_u32_f32_e32 v2, v2
	v_mul_lo_u32 v3, s26, v2
	v_mul_hi_u32 v3, v2, v3
	v_add_u32_e32 v2, v2, v3
	v_mul_hi_u32 v2, v6, v2
	v_mul_lo_u32 v3, v2, s24
	v_add_u32_e32 v8, 1, v2
	v_sub_u32_e32 v3, v6, v3
	v_subrev_u32_e32 v9, s24, v3
	v_cmp_le_u32_e32 vcc, s24, v3
	v_cndmask_b32_e32 v3, v3, v9, vcc
	v_cndmask_b32_e32 v2, v2, v8, vcc
	v_add_u32_e32 v8, 1, v2
	v_cmp_le_u32_e32 vcc, s24, v3
	v_cndmask_b32_e32 v70, v2, v8, vcc
.LBB0_6:                                ;   in Loop: Header=BB0_2 Depth=1
	s_or_b64 exec, exec, s[0:1]
	v_mul_lo_u32 v8, v71, s24
	v_mul_lo_u32 v9, v70, s25
	v_mad_u64_u32 v[2:3], s[0:1], v70, s24, 0
	s_load_dwordx2 s[0:1], s[6:7], 0x0
	s_load_dwordx2 s[24:25], s[2:3], 0x0
	v_add3_u32 v3, v3, v9, v8
	v_sub_co_u32_e32 v2, vcc, v6, v2
	v_subb_co_u32_e32 v3, vcc, v7, v3, vcc
	s_waitcnt lgkmcnt(0)
	v_mul_lo_u32 v6, s0, v3
	v_mul_lo_u32 v7, s1, v2
	v_mad_u64_u32 v[4:5], s[0:1], s0, v2, v[4:5]
	v_mul_lo_u32 v3, s24, v3
	v_mul_lo_u32 v8, s25, v2
	v_mad_u64_u32 v[68:69], s[0:1], s24, v2, v[68:69]
	s_add_u32 s22, s22, 1
	s_addc_u32 s23, s23, 0
	s_add_u32 s2, s2, 8
	v_add3_u32 v69, v8, v69, v3
	s_addc_u32 s3, s3, 0
	v_mov_b32_e32 v2, s10
	s_add_u32 s6, s6, 8
	v_mov_b32_e32 v3, s11
	s_addc_u32 s7, s7, 0
	v_cmp_ge_u64_e32 vcc, s[22:23], v[2:3]
	s_add_u32 s20, s20, 8
	v_add3_u32 v5, v7, v5, v6
	s_addc_u32 s21, s21, 0
	s_cbranch_vccnz .LBB0_9
; %bb.7:                                ;   in Loop: Header=BB0_2 Depth=1
	v_mov_b32_e32 v6, v70
	v_mov_b32_e32 v7, v71
	s_branch .LBB0_2
.LBB0_8:
	v_mov_b32_e32 v69, v5
	v_mov_b32_e32 v71, v7
	;; [unrolled: 1-line block ×4, first 2 shown]
.LBB0_9:
	s_load_dwordx2 s[4:5], s[4:5], 0x28
	s_lshl_b64 s[6:7], s[10:11], 3
	s_add_u32 s2, s18, s6
	s_addc_u32 s3, s19, s7
                                        ; implicit-def: $vgpr112
	s_waitcnt lgkmcnt(0)
	v_cmp_gt_u64_e64 s[0:1], s[4:5], v[70:71]
	v_cmp_le_u64_e32 vcc, s[4:5], v[70:71]
	s_and_saveexec_b64 s[4:5], vcc
	s_xor_b64 s[4:5], exec, s[4:5]
; %bb.10:
	s_mov_b32 s10, 0x5050506
	v_mul_hi_u32 v1, v0, s10
                                        ; implicit-def: $vgpr4_vgpr5
	v_mul_u32_u24_e32 v1, 51, v1
	v_sub_u32_e32 v112, v0, v1
                                        ; implicit-def: $vgpr0
; %bb.11:
	s_or_saveexec_b64 s[4:5], s[4:5]
                                        ; implicit-def: $vgpr22_vgpr23
                                        ; implicit-def: $vgpr26_vgpr27
                                        ; implicit-def: $vgpr30_vgpr31
                                        ; implicit-def: $vgpr38_vgpr39
                                        ; implicit-def: $vgpr50_vgpr51
                                        ; implicit-def: $vgpr54_vgpr55
                                        ; implicit-def: $vgpr58_vgpr59
                                        ; implicit-def: $vgpr62_vgpr63
                                        ; implicit-def: $vgpr66_vgpr67
                                        ; implicit-def: $vgpr18_vgpr19
                                        ; implicit-def: $vgpr14_vgpr15
                                        ; implicit-def: $vgpr46_vgpr47
                                        ; implicit-def: $vgpr42_vgpr43
                                        ; implicit-def: $vgpr34_vgpr35
                                        ; implicit-def: $vgpr10_vgpr11
                                        ; implicit-def: $vgpr6_vgpr7
                                        ; implicit-def: $vgpr2_vgpr3
	s_xor_b64 exec, exec, s[4:5]
	s_cbranch_execz .LBB0_13
; %bb.12:
	s_add_u32 s6, s16, s6
	s_addc_u32 s7, s17, s7
	s_load_dwordx2 s[6:7], s[6:7], 0x0
	s_mov_b32 s10, 0x5050506
	v_mul_hi_u32 v3, v0, s10
	s_waitcnt lgkmcnt(0)
	v_mul_lo_u32 v6, s7, v70
	v_mul_lo_u32 v7, s6, v71
	v_mad_u64_u32 v[1:2], s[6:7], s6, v70, 0
	v_mul_u32_u24_e32 v3, 51, v3
	v_sub_u32_e32 v112, v0, v3
	v_add3_u32 v2, v2, v7, v6
	v_lshlrev_b64 v[0:1], 4, v[1:2]
	v_mov_b32_e32 v2, s13
	v_add_co_u32_e32 v3, vcc, s12, v0
	v_addc_co_u32_e32 v2, vcc, v2, v1, vcc
	v_lshlrev_b64 v[0:1], 4, v[4:5]
	s_movk_i32 s6, 0x1000
	v_add_co_u32_e32 v0, vcc, v3, v0
	v_addc_co_u32_e32 v1, vcc, v2, v1, vcc
	v_lshlrev_b32_e32 v2, 4, v112
	v_add_co_u32_e32 v20, vcc, v0, v2
	v_addc_co_u32_e32 v21, vcc, 0, v1, vcc
	v_add_co_u32_e32 v72, vcc, s6, v20
	v_addc_co_u32_e32 v73, vcc, 0, v21, vcc
	s_movk_i32 s6, 0x2000
	v_add_co_u32_e32 v74, vcc, s6, v20
	v_addc_co_u32_e32 v75, vcc, 0, v21, vcc
	v_add_co_u32_e32 v76, vcc, 0x3000, v20
	global_load_dwordx4 v[0:3], v[20:21], off
	global_load_dwordx4 v[4:7], v[20:21], off offset:816
	global_load_dwordx4 v[8:11], v[20:21], off offset:1632
	;; [unrolled: 1-line block ×7, first 2 shown]
	v_addc_co_u32_e32 v77, vcc, 0, v21, vcc
	global_load_dwordx4 v[64:67], v[72:73], off offset:2432
	global_load_dwordx4 v[60:63], v[72:73], off offset:3248
	;; [unrolled: 1-line block ×9, first 2 shown]
.LBB0_13:
	s_or_b64 exec, exec, s[4:5]
	s_waitcnt vmcnt(15)
	v_add_f64 v[72:73], v[4:5], v[0:1]
	v_add_f64 v[74:75], v[6:7], v[2:3]
	s_waitcnt vmcnt(3)
	v_add_f64 v[102:103], v[36:37], v[40:41]
	v_add_f64 v[96:97], v[38:39], v[42:43]
	v_add_f64 v[100:101], v[40:41], -v[36:37]
	v_add_f64 v[98:99], v[42:43], -v[38:39]
	v_add_f64 v[94:95], v[48:49], v[44:45]
	v_add_f64 v[88:89], v[50:51], v[46:47]
	;; [unrolled: 1-line block ×4, first 2 shown]
	v_add_f64 v[92:93], v[44:45], -v[48:49]
	v_add_f64 v[90:91], v[46:47], -v[50:51]
	v_add_f64 v[86:87], v[52:53], v[12:13]
	v_add_f64 v[80:81], v[54:55], v[14:15]
	v_add_f64 v[84:85], v[12:13], -v[52:53]
	v_add_f64 v[82:83], v[14:15], -v[54:55]
	v_add_f64 v[76:77], v[32:33], v[72:73]
	v_add_f64 v[74:75], v[34:35], v[74:75]
	s_waitcnt vmcnt(0)
	v_add_f64 v[117:118], v[4:5], -v[20:21]
	s_mov_b32 s20, 0x75d4884
	s_mov_b32 s18, 0x7c9e640b
	;; [unrolled: 1-line block ×5, first 2 shown]
	v_add_f64 v[40:41], v[40:41], v[76:77]
	v_add_f64 v[42:43], v[42:43], v[74:75]
	s_mov_b32 s34, 0x910ea3b9
	s_mov_b32 s21, 0x3fe7a5f6
	;; [unrolled: 1-line block ×6, first 2 shown]
	v_add_f64 v[44:45], v[44:45], v[40:41]
	v_add_f64 v[46:47], v[46:47], v[42:43]
	s_mov_b32 s51, 0x3feec746
	s_mov_b32 s23, 0xbfeec746
	;; [unrolled: 1-line block ×6, first 2 shown]
	v_add_f64 v[12:13], v[12:13], v[44:45]
	v_add_f64 v[14:15], v[14:15], v[46:47]
	;; [unrolled: 1-line block ×3, first 2 shown]
	s_mov_b32 s42, s12
	s_mov_b32 s22, s50
	;; [unrolled: 1-line block ×3, first 2 shown]
	v_add_f64 v[78:79], v[56:57], v[16:17]
	v_add_f64 v[72:73], v[58:59], v[18:19]
	;; [unrolled: 1-line block ×4, first 2 shown]
	v_add_f64 v[76:77], v[16:17], -v[56:57]
	v_add_f64 v[74:75], v[18:19], -v[58:59]
	v_add_f64 v[110:111], v[28:29], v[32:33]
	v_add_f64 v[104:105], v[30:31], v[34:35]
	v_add_f64 v[108:109], v[32:33], -v[28:29]
	v_add_f64 v[106:107], v[34:35], -v[30:31]
	v_add_f64 v[4:5], v[64:65], v[4:5]
	v_add_f64 v[12:13], v[66:67], v[12:13]
	;; [unrolled: 1-line block ×4, first 2 shown]
	v_add_f64 v[42:43], v[64:65], -v[60:61]
	v_add_f64 v[34:35], v[66:67], -v[62:63]
	v_add_f64 v[46:47], v[22:23], v[6:7]
	v_add_f64 v[6:7], v[6:7], -v[22:23]
	v_add_f64 v[4:5], v[60:61], v[4:5]
	v_add_f64 v[12:13], v[62:63], v[12:13]
	v_mul_f64 v[16:17], v[44:45], s[20:21]
	v_mul_f64 v[64:65], v[117:118], s[42:43]
	;; [unrolled: 1-line block ×4, first 2 shown]
	s_mov_b32 s24, 0x370991
	s_mov_b32 s30, 0x5d8e7cdc
	v_add_f64 v[4:5], v[56:57], v[4:5]
	v_add_f64 v[12:13], v[58:59], v[12:13]
	v_mul_f64 v[58:59], v[117:118], s[52:53]
	s_mov_b32 s26, 0x2a9d6da3
	s_mov_b32 s4, 0x2b2883cd
	;; [unrolled: 1-line block ×5, first 2 shown]
	v_add_f64 v[4:5], v[52:53], v[4:5]
	v_add_f64 v[12:13], v[54:55], v[12:13]
	s_mov_b32 s54, 0x4363dd80
	s_mov_b32 s40, 0x7faef3
	;; [unrolled: 1-line block ×6, first 2 shown]
	v_add_f64 v[4:5], v[48:49], v[4:5]
	v_add_f64 v[12:13], v[50:51], v[12:13]
	v_mul_f64 v[50:51], v[44:45], s[34:35]
	s_mov_b32 s27, 0x3fe58eea
	s_mov_b32 s49, 0xbfe58eea
	;; [unrolled: 1-line block ×5, first 2 shown]
	v_add_f64 v[4:5], v[36:37], v[4:5]
	v_add_f64 v[12:13], v[38:39], v[12:13]
	s_mov_b32 s17, 0xbfe348c8
	s_mov_b32 s36, s30
	;; [unrolled: 1-line block ×6, first 2 shown]
	v_add_f64 v[4:5], v[28:29], v[4:5]
	v_add_f64 v[12:13], v[30:31], v[12:13]
	s_mov_b32 s38, s54
	s_mov_b32 s57, 0x3fc7851a
	;; [unrolled: 1-line block ×4, first 2 shown]
	v_add_f64 v[113:114], v[24:25], v[8:9]
	v_add_f64 v[8:9], v[8:9], -v[24:25]
	v_add_f64 v[4:5], v[24:25], v[4:5]
	v_add_f64 v[12:13], v[26:27], v[12:13]
	v_mul_f64 v[14:15], v[44:45], s[24:25]
	v_mul_f64 v[18:19], v[44:45], s[4:5]
	;; [unrolled: 1-line block ×5, first 2 shown]
	v_fma_f64 v[30:31], v[6:7], s[26:27], v[16:17]
	v_fma_f64 v[52:53], v[6:7], s[48:49], v[16:17]
	v_add_f64 v[4:5], v[20:21], v[4:5]
	v_add_f64 v[16:17], v[22:23], v[12:13]
	v_mul_f64 v[12:13], v[44:45], s[40:41]
	v_fma_f64 v[20:21], v[6:7], s[54:55], v[50:51]
	v_fma_f64 v[22:23], v[6:7], s[38:39], v[50:51]
	v_mul_f64 v[44:45], v[117:118], s[36:37]
	v_mul_f64 v[50:51], v[117:118], s[48:49]
	v_fma_f64 v[119:120], v[46:47], s[4:5], v[58:59]
	v_mul_f64 v[123:124], v[117:118], s[38:39]
	v_mul_f64 v[117:118], v[117:118], s[46:47]
	v_fma_f64 v[125:126], v[46:47], s[6:7], v[64:65]
	v_fma_f64 v[127:128], v[46:47], s[10:11], v[66:67]
	;; [unrolled: 1-line block ×3, first 2 shown]
	v_add_f64 v[115:116], v[26:27], v[10:11]
	v_add_f64 v[10:11], v[10:11], -v[26:27]
	v_fma_f64 v[28:29], v[6:7], s[30:31], v[14:15]
	v_fma_f64 v[14:15], v[6:7], s[36:37], v[14:15]
	;; [unrolled: 1-line block ×13, first 2 shown]
	v_fma_f64 v[44:45], v[46:47], s[24:25], -v[44:45]
	v_fma_f64 v[62:63], v[46:47], s[20:21], v[50:51]
	v_fma_f64 v[50:51], v[46:47], s[20:21], -v[50:51]
	v_fma_f64 v[58:59], v[46:47], s[4:5], -v[58:59]
	;; [unrolled: 1-line block ×5, first 2 shown]
	v_fma_f64 v[131:132], v[46:47], s[34:35], v[123:124]
	v_fma_f64 v[123:124], v[46:47], s[34:35], -v[123:124]
	v_fma_f64 v[133:134], v[46:47], s[40:41], v[117:118]
	v_fma_f64 v[46:47], v[46:47], s[40:41], -v[117:118]
	v_add_f64 v[117:118], v[2:3], v[119:120]
	v_add_f64 v[119:120], v[2:3], v[125:126]
	;; [unrolled: 1-line block ×4, first 2 shown]
	v_mul_f64 v[129:130], v[113:114], s[20:21]
	v_mul_f64 v[135:136], v[8:9], s[48:49]
	;; [unrolled: 1-line block ×4, first 2 shown]
	v_add_f64 v[28:29], v[0:1], v[28:29]
	v_add_f64 v[12:13], v[2:3], v[12:13]
	;; [unrolled: 1-line block ×26, first 2 shown]
	v_fma_f64 v[137:138], v[10:11], s[26:27], v[129:130]
	v_fma_f64 v[141:142], v[115:116], s[20:21], v[135:136]
	;; [unrolled: 1-line block ×3, first 2 shown]
	v_add_f64 v[0:1], v[0:1], v[6:7]
	v_fma_f64 v[6:7], v[115:116], s[20:21], -v[135:136]
	v_add_f64 v[2:3], v[2:3], v[46:47]
	v_fma_f64 v[46:47], v[10:11], s[12:13], v[139:140]
	v_fma_f64 v[135:136], v[115:116], s[6:7], v[143:144]
	v_add_f64 v[28:29], v[137:138], v[28:29]
	v_add_f64 v[12:13], v[141:142], v[12:13]
	;; [unrolled: 1-line block ×3, first 2 shown]
	v_mul_f64 v[129:130], v[113:114], s[16:17]
	v_add_f64 v[6:7], v[6:7], v[44:45]
	v_mul_f64 v[44:45], v[8:9], s[28:29]
	v_fma_f64 v[137:138], v[10:11], s[42:43], v[139:140]
	v_add_f64 v[30:31], v[46:47], v[30:31]
	v_fma_f64 v[46:47], v[115:116], s[6:7], -v[143:144]
	v_add_f64 v[62:63], v[135:136], v[62:63]
	v_mul_f64 v[135:136], v[113:114], s[40:41]
	v_mul_f64 v[141:142], v[8:9], s[46:47]
	v_fma_f64 v[139:140], v[10:11], s[44:45], v[129:130]
	v_fma_f64 v[143:144], v[115:116], s[16:17], v[44:45]
	v_add_f64 v[52:53], v[137:138], v[52:53]
	v_fma_f64 v[129:130], v[10:11], s[28:29], v[129:130]
	v_add_f64 v[46:47], v[46:47], v[50:51]
	v_fma_f64 v[44:45], v[115:116], s[16:17], -v[44:45]
	v_fma_f64 v[50:51], v[10:11], s[56:57], v[135:136]
	v_fma_f64 v[137:138], v[115:116], s[40:41], v[141:142]
	v_add_f64 v[54:55], v[139:140], v[54:55]
	v_mul_f64 v[139:140], v[113:114], s[34:35]
	v_add_f64 v[117:118], v[143:144], v[117:118]
	v_add_f64 v[18:19], v[129:130], v[18:19]
	v_mul_f64 v[129:130], v[8:9], s[54:55]
	v_add_f64 v[44:45], v[44:45], v[58:59]
	v_add_f64 v[24:25], v[50:51], v[24:25]
	v_fma_f64 v[50:51], v[10:11], s[46:47], v[135:136]
	v_add_f64 v[58:59], v[137:138], v[119:120]
	v_fma_f64 v[119:120], v[115:116], s[40:41], -v[141:142]
	v_mul_f64 v[137:138], v[113:114], s[10:11]
	v_fma_f64 v[135:136], v[10:11], s[38:39], v[139:140]
	v_mul_f64 v[143:144], v[8:9], s[50:51]
	v_fma_f64 v[141:142], v[115:116], s[34:35], v[129:130]
	v_fma_f64 v[139:140], v[10:11], s[54:55], v[139:140]
	v_add_f64 v[26:27], v[50:51], v[26:27]
	v_fma_f64 v[50:51], v[115:116], s[34:35], -v[129:130]
	v_add_f64 v[64:65], v[119:120], v[64:65]
	v_fma_f64 v[119:120], v[10:11], s[22:23], v[137:138]
	v_add_f64 v[36:37], v[135:136], v[36:37]
	v_fma_f64 v[129:130], v[115:116], s[10:11], v[143:144]
	v_fma_f64 v[135:136], v[10:11], s[50:51], v[137:138]
	v_mul_f64 v[137:138], v[113:114], s[4:5]
	v_mul_f64 v[113:114], v[113:114], s[24:25]
	v_add_f64 v[50:51], v[50:51], v[66:67]
	v_fma_f64 v[66:67], v[115:116], s[10:11], -v[143:144]
	v_add_f64 v[56:57], v[119:120], v[56:57]
	v_mul_f64 v[119:120], v[8:9], s[18:19]
	v_mul_f64 v[8:9], v[8:9], s[30:31]
	v_add_f64 v[127:128], v[129:130], v[127:128]
	v_add_f64 v[48:49], v[135:136], v[48:49]
	v_fma_f64 v[129:130], v[10:11], s[18:19], v[137:138]
	v_fma_f64 v[135:136], v[10:11], s[36:37], v[113:114]
	v_add_f64 v[66:67], v[66:67], v[121:122]
	v_fma_f64 v[121:122], v[10:11], s[52:53], v[137:138]
	v_fma_f64 v[137:138], v[115:116], s[4:5], v[119:120]
	;; [unrolled: 1-line block ×3, first 2 shown]
	v_fma_f64 v[113:114], v[115:116], s[4:5], -v[119:120]
	v_fma_f64 v[119:120], v[115:116], s[24:25], v[8:9]
	v_fma_f64 v[8:9], v[115:116], s[24:25], -v[8:9]
	v_mul_f64 v[115:116], v[110:111], s[4:5]
	v_add_f64 v[22:23], v[129:130], v[22:23]
	v_add_f64 v[20:21], v[121:122], v[20:21]
	v_mul_f64 v[121:122], v[108:109], s[52:53]
	v_add_f64 v[60:61], v[135:136], v[60:61]
	v_add_f64 v[113:114], v[113:114], v[123:124]
	v_mul_f64 v[129:130], v[110:111], s[16:17]
	v_mul_f64 v[135:136], v[108:109], s[28:29]
	v_fma_f64 v[123:124], v[106:107], s[18:19], v[115:116]
	v_add_f64 v[119:120], v[119:120], v[133:134]
	v_fma_f64 v[115:116], v[106:107], s[52:53], v[115:116]
	v_fma_f64 v[133:134], v[104:105], s[4:5], v[121:122]
	v_add_f64 v[0:1], v[10:11], v[0:1]
	v_fma_f64 v[10:11], v[104:105], s[4:5], -v[121:122]
	v_add_f64 v[2:3], v[8:9], v[2:3]
	v_fma_f64 v[121:122], v[104:105], s[16:17], v[135:136]
	v_add_f64 v[8:9], v[123:124], v[28:29]
	v_fma_f64 v[28:29], v[106:107], s[44:45], v[129:130]
	v_add_f64 v[14:15], v[115:116], v[14:15]
	v_add_f64 v[12:13], v[133:134], v[12:13]
	v_mul_f64 v[115:116], v[110:111], s[40:41]
	v_add_f64 v[6:7], v[10:11], v[6:7]
	v_mul_f64 v[10:11], v[108:109], s[56:57]
	v_fma_f64 v[123:124], v[106:107], s[28:29], v[129:130]
	v_add_f64 v[62:63], v[121:122], v[62:63]
	v_add_f64 v[28:29], v[28:29], v[30:31]
	v_fma_f64 v[30:31], v[104:105], s[16:17], -v[135:136]
	v_mul_f64 v[121:122], v[110:111], s[10:11]
	v_mul_f64 v[133:134], v[108:109], s[50:51]
	v_fma_f64 v[129:130], v[106:107], s[46:47], v[115:116]
	v_fma_f64 v[135:136], v[104:105], s[40:41], v[10:11]
	v_add_f64 v[52:53], v[123:124], v[52:53]
	v_fma_f64 v[115:116], v[106:107], s[56:57], v[115:116]
	v_fma_f64 v[10:11], v[104:105], s[40:41], -v[10:11]
	v_add_f64 v[30:31], v[30:31], v[46:47]
	v_fma_f64 v[46:47], v[106:107], s[22:23], v[121:122]
	v_fma_f64 v[123:124], v[104:105], s[10:11], v[133:134]
	v_add_f64 v[54:55], v[129:130], v[54:55]
	v_mul_f64 v[129:130], v[110:111], s[20:21]
	v_add_f64 v[125:126], v[141:142], v[125:126]
	v_add_f64 v[18:19], v[115:116], v[18:19]
	v_mul_f64 v[115:116], v[108:109], s[26:27]
	v_add_f64 v[10:11], v[10:11], v[44:45]
	v_add_f64 v[24:25], v[46:47], v[24:25]
	v_fma_f64 v[44:45], v[106:107], s[50:51], v[121:122]
	v_add_f64 v[46:47], v[123:124], v[58:59]
	v_fma_f64 v[58:59], v[104:105], s[10:11], -v[133:134]
	v_mul_f64 v[123:124], v[110:111], s[24:25]
	v_add_f64 v[117:118], v[135:136], v[117:118]
	v_fma_f64 v[121:122], v[106:107], s[48:49], v[129:130]
	v_fma_f64 v[133:134], v[104:105], s[20:21], v[115:116]
	v_mul_f64 v[135:136], v[108:109], s[36:37]
	v_add_f64 v[26:27], v[44:45], v[26:27]
	v_fma_f64 v[44:45], v[104:105], s[20:21], -v[115:116]
	v_add_f64 v[58:59], v[58:59], v[64:65]
	v_fma_f64 v[64:65], v[106:107], s[30:31], v[123:124]
	v_fma_f64 v[123:124], v[106:107], s[36:37], v[123:124]
	v_add_f64 v[36:37], v[121:122], v[36:37]
	v_add_f64 v[115:116], v[133:134], v[125:126]
	v_fma_f64 v[121:122], v[104:105], s[24:25], v[135:136]
	v_mul_f64 v[125:126], v[110:111], s[6:7]
	v_add_f64 v[44:45], v[44:45], v[50:51]
	v_fma_f64 v[50:51], v[104:105], s[24:25], -v[135:136]
	v_add_f64 v[56:57], v[64:65], v[56:57]
	v_mul_f64 v[64:65], v[110:111], s[34:35]
	v_mul_f64 v[110:111], v[108:109], s[42:43]
	;; [unrolled: 1-line block ×3, first 2 shown]
	v_fma_f64 v[129:130], v[106:107], s[26:27], v[129:130]
	v_add_f64 v[121:122], v[121:122], v[127:128]
	v_add_f64 v[48:49], v[123:124], v[48:49]
	;; [unrolled: 1-line block ×3, first 2 shown]
	v_fma_f64 v[66:67], v[106:107], s[12:13], v[125:126]
	v_fma_f64 v[123:124], v[106:107], s[42:43], v[125:126]
	;; [unrolled: 1-line block ×5, first 2 shown]
	v_fma_f64 v[106:107], v[104:105], s[6:7], -v[110:111]
	v_fma_f64 v[110:111], v[104:105], s[34:35], v[108:109]
	v_fma_f64 v[104:105], v[104:105], s[34:35], -v[108:109]
	v_mul_f64 v[108:109], v[102:103], s[6:7]
	v_add_f64 v[20:21], v[66:67], v[20:21]
	v_mul_f64 v[66:67], v[100:101], s[42:43]
	v_add_f64 v[60:61], v[125:126], v[60:61]
	;; [unrolled: 2-line block ×3, first 2 shown]
	v_add_f64 v[110:111], v[110:111], v[119:120]
	v_mul_f64 v[119:120], v[102:103], s[40:41]
	v_add_f64 v[106:107], v[106:107], v[113:114]
	v_fma_f64 v[113:114], v[98:99], s[12:13], v[108:109]
	v_fma_f64 v[123:124], v[96:97], s[6:7], v[66:67]
	;; [unrolled: 1-line block ×3, first 2 shown]
	v_add_f64 v[0:1], v[64:65], v[0:1]
	v_fma_f64 v[64:65], v[96:97], s[6:7], -v[66:67]
	v_add_f64 v[2:3], v[104:105], v[2:3]
	v_fma_f64 v[66:67], v[98:99], s[56:57], v[119:120]
	v_fma_f64 v[104:105], v[96:97], s[40:41], v[125:126]
	v_add_f64 v[8:9], v[113:114], v[8:9]
	v_add_f64 v[12:13], v[123:124], v[12:13]
	;; [unrolled: 1-line block ×3, first 2 shown]
	v_mul_f64 v[108:109], v[102:103], s[10:11]
	v_add_f64 v[6:7], v[64:65], v[6:7]
	v_mul_f64 v[64:65], v[100:101], s[50:51]
	v_fma_f64 v[113:114], v[98:99], s[46:47], v[119:120]
	v_add_f64 v[28:29], v[66:67], v[28:29]
	v_fma_f64 v[66:67], v[96:97], s[40:41], -v[125:126]
	v_add_f64 v[62:63], v[104:105], v[62:63]
	v_mul_f64 v[104:105], v[102:103], s[24:25]
	v_mul_f64 v[123:124], v[100:101], s[30:31]
	v_fma_f64 v[119:120], v[98:99], s[22:23], v[108:109]
	v_fma_f64 v[125:126], v[96:97], s[10:11], v[64:65]
	v_add_f64 v[52:53], v[113:114], v[52:53]
	v_fma_f64 v[108:109], v[98:99], s[50:51], v[108:109]
	v_add_f64 v[30:31], v[66:67], v[30:31]
	v_fma_f64 v[64:65], v[96:97], s[10:11], -v[64:65]
	v_fma_f64 v[66:67], v[98:99], s[36:37], v[104:105]
	v_fma_f64 v[113:114], v[96:97], s[24:25], v[123:124]
	v_add_f64 v[54:55], v[119:120], v[54:55]
	v_mul_f64 v[119:120], v[102:103], s[4:5]
	v_add_f64 v[38:39], v[139:140], v[38:39]
	v_add_f64 v[18:19], v[108:109], v[18:19]
	v_mul_f64 v[108:109], v[100:101], s[52:53]
	v_add_f64 v[10:11], v[64:65], v[10:11]
	v_add_f64 v[24:25], v[66:67], v[24:25]
	v_fma_f64 v[64:65], v[98:99], s[30:31], v[104:105]
	v_add_f64 v[46:47], v[113:114], v[46:47]
	v_fma_f64 v[66:67], v[96:97], s[24:25], -v[123:124]
	v_mul_f64 v[113:114], v[102:103], s[34:35]
	v_add_f64 v[117:118], v[125:126], v[117:118]
	v_fma_f64 v[104:105], v[98:99], s[18:19], v[119:120]
	v_fma_f64 v[123:124], v[96:97], s[4:5], v[108:109]
	v_mul_f64 v[125:126], v[100:101], s[38:39]
	v_add_f64 v[26:27], v[64:65], v[26:27]
	v_fma_f64 v[64:65], v[96:97], s[4:5], -v[108:109]
	v_add_f64 v[58:59], v[66:67], v[58:59]
	v_fma_f64 v[66:67], v[98:99], s[54:55], v[113:114]
	v_add_f64 v[38:39], v[129:130], v[38:39]
	v_fma_f64 v[119:120], v[98:99], s[52:53], v[119:120]
	v_add_f64 v[36:37], v[104:105], v[36:37]
	v_add_f64 v[104:105], v[123:124], v[115:116]
	v_fma_f64 v[113:114], v[98:99], s[38:39], v[113:114]
	v_add_f64 v[44:45], v[64:65], v[44:45]
	v_fma_f64 v[64:65], v[96:97], s[34:35], -v[125:126]
	v_mul_f64 v[115:116], v[102:103], s[16:17]
	v_add_f64 v[56:57], v[66:67], v[56:57]
	v_mul_f64 v[66:67], v[102:103], s[20:21]
	v_mul_f64 v[102:103], v[100:101], s[44:45]
	;; [unrolled: 1-line block ×3, first 2 shown]
	v_add_f64 v[38:39], v[119:120], v[38:39]
	v_add_f64 v[48:49], v[113:114], v[48:49]
	;; [unrolled: 1-line block ×3, first 2 shown]
	v_fma_f64 v[64:65], v[98:99], s[28:29], v[115:116]
	v_fma_f64 v[113:114], v[98:99], s[44:45], v[115:116]
	;; [unrolled: 1-line block ×5, first 2 shown]
	v_fma_f64 v[98:99], v[96:97], s[16:17], -v[102:103]
	v_fma_f64 v[102:103], v[96:97], s[20:21], v[100:101]
	v_fma_f64 v[108:109], v[96:97], s[34:35], v[125:126]
	v_fma_f64 v[96:97], v[96:97], s[20:21], -v[100:101]
	v_mul_f64 v[100:101], v[94:95], s[10:11]
	v_add_f64 v[20:21], v[64:65], v[20:21]
	v_mul_f64 v[64:65], v[92:93], s[22:23]
	v_add_f64 v[60:61], v[115:116], v[60:61]
	;; [unrolled: 2-line block ×4, first 2 shown]
	v_add_f64 v[98:99], v[98:99], v[106:107]
	v_fma_f64 v[106:107], v[90:91], s[50:51], v[100:101]
	v_fma_f64 v[113:114], v[88:89], s[10:11], v[64:65]
	;; [unrolled: 1-line block ×3, first 2 shown]
	v_add_f64 v[0:1], v[66:67], v[0:1]
	v_fma_f64 v[64:65], v[88:89], s[10:11], -v[64:65]
	v_add_f64 v[2:3], v[96:97], v[2:3]
	v_fma_f64 v[66:67], v[90:91], s[38:39], v[110:111]
	v_fma_f64 v[96:97], v[88:89], s[34:35], v[115:116]
	v_add_f64 v[8:9], v[106:107], v[8:9]
	v_add_f64 v[12:13], v[113:114], v[12:13]
	;; [unrolled: 1-line block ×3, first 2 shown]
	v_mul_f64 v[100:101], v[94:95], s[20:21]
	v_add_f64 v[6:7], v[64:65], v[6:7]
	v_mul_f64 v[64:65], v[92:93], s[26:27]
	v_fma_f64 v[106:107], v[90:91], s[54:55], v[110:111]
	v_add_f64 v[28:29], v[66:67], v[28:29]
	v_fma_f64 v[66:67], v[88:89], s[34:35], -v[115:116]
	v_add_f64 v[62:63], v[96:97], v[62:63]
	v_mul_f64 v[96:97], v[94:95], s[4:5]
	v_mul_f64 v[113:114], v[92:93], s[52:53]
	v_fma_f64 v[110:111], v[90:91], s[48:49], v[100:101]
	v_fma_f64 v[115:116], v[88:89], s[20:21], v[64:65]
	v_add_f64 v[52:53], v[106:107], v[52:53]
	v_fma_f64 v[100:101], v[90:91], s[26:27], v[100:101]
	v_add_f64 v[30:31], v[66:67], v[30:31]
	v_fma_f64 v[64:65], v[88:89], s[20:21], -v[64:65]
	v_fma_f64 v[66:67], v[90:91], s[18:19], v[96:97]
	v_fma_f64 v[106:107], v[88:89], s[4:5], v[113:114]
	v_add_f64 v[54:55], v[110:111], v[54:55]
	v_add_f64 v[110:111], v[115:116], v[117:118]
	v_mul_f64 v[115:116], v[94:95], s[40:41]
	v_add_f64 v[18:19], v[100:101], v[18:19]
	v_mul_f64 v[100:101], v[92:93], s[46:47]
	v_add_f64 v[10:11], v[64:65], v[10:11]
	v_add_f64 v[24:25], v[66:67], v[24:25]
	v_fma_f64 v[64:65], v[90:91], s[52:53], v[96:97]
	v_add_f64 v[46:47], v[106:107], v[46:47]
	v_fma_f64 v[66:67], v[88:89], s[4:5], -v[113:114]
	v_mul_f64 v[106:107], v[94:95], s[6:7]
	v_fma_f64 v[96:97], v[90:91], s[56:57], v[115:116]
	v_fma_f64 v[113:114], v[88:89], s[40:41], v[100:101]
	v_mul_f64 v[117:118], v[92:93], s[12:13]
	v_add_f64 v[108:109], v[108:109], v[121:122]
	v_add_f64 v[26:27], v[64:65], v[26:27]
	v_fma_f64 v[64:65], v[88:89], s[40:41], -v[100:101]
	v_add_f64 v[58:59], v[66:67], v[58:59]
	v_fma_f64 v[66:67], v[90:91], s[42:43], v[106:107]
	v_add_f64 v[36:37], v[96:97], v[36:37]
	v_add_f64 v[96:97], v[113:114], v[104:105]
	v_fma_f64 v[100:101], v[88:89], s[6:7], v[117:118]
	v_fma_f64 v[104:105], v[90:91], s[12:13], v[106:107]
	v_mul_f64 v[106:107], v[94:95], s[24:25]
	v_add_f64 v[44:45], v[64:65], v[44:45]
	v_fma_f64 v[64:65], v[88:89], s[6:7], -v[117:118]
	v_add_f64 v[56:57], v[66:67], v[56:57]
	v_mul_f64 v[66:67], v[94:95], s[16:17]
	v_mul_f64 v[94:95], v[92:93], s[36:37]
	;; [unrolled: 1-line block ×3, first 2 shown]
	v_fma_f64 v[115:116], v[90:91], s[46:47], v[115:116]
	v_add_f64 v[100:101], v[100:101], v[108:109]
	v_add_f64 v[48:49], v[104:105], v[48:49]
	;; [unrolled: 1-line block ×3, first 2 shown]
	v_fma_f64 v[64:65], v[90:91], s[30:31], v[106:107]
	v_fma_f64 v[104:105], v[90:91], s[36:37], v[106:107]
	v_fma_f64 v[106:107], v[90:91], s[44:45], v[66:67]
	v_fma_f64 v[108:109], v[88:89], s[24:25], v[94:95]
	v_fma_f64 v[66:67], v[90:91], s[28:29], v[66:67]
	v_fma_f64 v[90:91], v[88:89], s[24:25], -v[94:95]
	v_fma_f64 v[94:95], v[88:89], s[16:17], v[92:93]
	v_fma_f64 v[88:89], v[88:89], s[16:17], -v[92:93]
	v_mul_f64 v[92:93], v[86:87], s[16:17]
	v_add_f64 v[20:21], v[64:65], v[20:21]
	v_mul_f64 v[64:65], v[84:85], s[28:29]
	v_add_f64 v[60:61], v[106:107], v[60:61]
	v_mul_f64 v[106:107], v[84:85], s[50:51]
	v_add_f64 v[22:23], v[104:105], v[22:23]
	v_add_f64 v[94:95], v[94:95], v[102:103]
	v_mul_f64 v[102:103], v[86:87], s[10:11]
	v_add_f64 v[90:91], v[90:91], v[98:99]
	v_fma_f64 v[98:99], v[82:83], s[44:45], v[92:93]
	v_fma_f64 v[104:105], v[80:81], s[16:17], v[64:65]
	;; [unrolled: 1-line block ×3, first 2 shown]
	v_add_f64 v[0:1], v[66:67], v[0:1]
	v_fma_f64 v[64:65], v[80:81], s[16:17], -v[64:65]
	v_add_f64 v[2:3], v[88:89], v[2:3]
	v_fma_f64 v[66:67], v[82:83], s[22:23], v[102:103]
	v_fma_f64 v[88:89], v[80:81], s[10:11], v[106:107]
	v_add_f64 v[8:9], v[98:99], v[8:9]
	v_add_f64 v[12:13], v[104:105], v[12:13]
	;; [unrolled: 1-line block ×3, first 2 shown]
	v_mul_f64 v[92:93], v[86:87], s[24:25]
	v_add_f64 v[6:7], v[64:65], v[6:7]
	v_mul_f64 v[64:65], v[84:85], s[36:37]
	v_fma_f64 v[98:99], v[82:83], s[50:51], v[102:103]
	v_add_f64 v[28:29], v[66:67], v[28:29]
	v_fma_f64 v[66:67], v[80:81], s[10:11], -v[106:107]
	v_add_f64 v[62:63], v[88:89], v[62:63]
	v_mul_f64 v[88:89], v[86:87], s[34:35]
	v_mul_f64 v[104:105], v[84:85], s[38:39]
	v_fma_f64 v[102:103], v[82:83], s[30:31], v[92:93]
	v_fma_f64 v[106:107], v[80:81], s[24:25], v[64:65]
	v_add_f64 v[52:53], v[98:99], v[52:53]
	v_fma_f64 v[92:93], v[82:83], s[36:37], v[92:93]
	v_add_f64 v[30:31], v[66:67], v[30:31]
	v_fma_f64 v[64:65], v[80:81], s[24:25], -v[64:65]
	v_fma_f64 v[66:67], v[82:83], s[54:55], v[88:89]
	v_fma_f64 v[98:99], v[80:81], s[34:35], v[104:105]
	v_add_f64 v[54:55], v[102:103], v[54:55]
	v_add_f64 v[102:103], v[106:107], v[110:111]
	v_mul_f64 v[106:107], v[86:87], s[6:7]
	v_add_f64 v[18:19], v[92:93], v[18:19]
	v_mul_f64 v[92:93], v[84:85], s[12:13]
	v_add_f64 v[10:11], v[64:65], v[10:11]
	v_add_f64 v[24:25], v[66:67], v[24:25]
	v_fma_f64 v[64:65], v[82:83], s[38:39], v[88:89]
	v_add_f64 v[46:47], v[98:99], v[46:47]
	v_fma_f64 v[66:67], v[80:81], s[34:35], -v[104:105]
	v_mul_f64 v[98:99], v[86:87], s[20:21]
	v_fma_f64 v[88:89], v[82:83], s[42:43], v[106:107]
	v_fma_f64 v[104:105], v[80:81], s[6:7], v[92:93]
	v_mul_f64 v[110:111], v[84:85], s[48:49]
	v_fma_f64 v[106:107], v[82:83], s[12:13], v[106:107]
	v_add_f64 v[26:27], v[64:65], v[26:27]
	v_fma_f64 v[64:65], v[80:81], s[6:7], -v[92:93]
	v_add_f64 v[58:59], v[66:67], v[58:59]
	v_fma_f64 v[66:67], v[82:83], s[26:27], v[98:99]
	v_add_f64 v[36:37], v[88:89], v[36:37]
	v_add_f64 v[88:89], v[104:105], v[96:97]
	v_fma_f64 v[92:93], v[80:81], s[20:21], v[110:111]
	v_fma_f64 v[96:97], v[82:83], s[48:49], v[98:99]
	v_mul_f64 v[98:99], v[86:87], s[40:41]
	v_add_f64 v[44:45], v[64:65], v[44:45]
	v_fma_f64 v[64:65], v[80:81], s[20:21], -v[110:111]
	v_add_f64 v[56:57], v[66:67], v[56:57]
	v_mul_f64 v[66:67], v[86:87], s[4:5]
	v_mul_f64 v[86:87], v[84:85], s[46:47]
	v_mul_f64 v[84:85], v[84:85], s[18:19]
	v_add_f64 v[92:93], v[92:93], v[100:101]
	v_add_f64 v[48:49], v[96:97], v[48:49]
	v_fma_f64 v[96:97], v[82:83], s[46:47], v[98:99]
	v_add_f64 v[50:51], v[64:65], v[50:51]
	v_fma_f64 v[64:65], v[82:83], s[56:57], v[98:99]
	v_fma_f64 v[98:99], v[82:83], s[52:53], v[66:67]
	;; [unrolled: 1-line block ×4, first 2 shown]
	v_fma_f64 v[82:83], v[80:81], s[40:41], -v[86:87]
	v_fma_f64 v[86:87], v[80:81], s[4:5], v[84:85]
	v_fma_f64 v[80:81], v[80:81], s[4:5], -v[84:85]
	v_mul_f64 v[84:85], v[78:79], s[34:35]
	v_add_f64 v[20:21], v[64:65], v[20:21]
	v_mul_f64 v[64:65], v[76:77], s[38:39]
	v_add_f64 v[60:61], v[98:99], v[60:61]
	;; [unrolled: 2-line block ×3, first 2 shown]
	v_add_f64 v[86:87], v[86:87], v[94:95]
	v_mul_f64 v[94:95], v[78:79], s[4:5]
	v_add_f64 v[82:83], v[82:83], v[90:91]
	v_fma_f64 v[90:91], v[74:75], s[54:55], v[84:85]
	v_fma_f64 v[96:97], v[72:73], s[34:35], v[64:65]
	;; [unrolled: 1-line block ×3, first 2 shown]
	v_add_f64 v[0:1], v[66:67], v[0:1]
	v_fma_f64 v[64:65], v[72:73], s[34:35], -v[64:65]
	v_add_f64 v[2:3], v[80:81], v[2:3]
	v_fma_f64 v[66:67], v[74:75], s[52:53], v[94:95]
	v_fma_f64 v[80:81], v[72:73], s[4:5], v[98:99]
	v_add_f64 v[8:9], v[90:91], v[8:9]
	v_add_f64 v[12:13], v[96:97], v[12:13]
	;; [unrolled: 1-line block ×3, first 2 shown]
	v_mul_f64 v[84:85], v[78:79], s[6:7]
	v_add_f64 v[6:7], v[64:65], v[6:7]
	v_mul_f64 v[64:65], v[76:77], s[42:43]
	v_fma_f64 v[90:91], v[74:75], s[18:19], v[94:95]
	v_add_f64 v[28:29], v[66:67], v[28:29]
	v_fma_f64 v[66:67], v[72:73], s[4:5], -v[98:99]
	v_add_f64 v[62:63], v[80:81], v[62:63]
	v_mul_f64 v[80:81], v[78:79], s[16:17]
	v_mul_f64 v[96:97], v[76:77], s[44:45]
	v_fma_f64 v[94:95], v[74:75], s[12:13], v[84:85]
	v_fma_f64 v[98:99], v[72:73], s[6:7], v[64:65]
	v_add_f64 v[52:53], v[90:91], v[52:53]
	v_fma_f64 v[84:85], v[74:75], s[42:43], v[84:85]
	v_add_f64 v[30:31], v[66:67], v[30:31]
	v_fma_f64 v[64:65], v[72:73], s[6:7], -v[64:65]
	v_fma_f64 v[66:67], v[74:75], s[28:29], v[80:81]
	v_fma_f64 v[90:91], v[72:73], s[16:17], v[96:97]
	v_add_f64 v[54:55], v[94:95], v[54:55]
	v_add_f64 v[94:95], v[98:99], v[102:103]
	v_mul_f64 v[98:99], v[78:79], s[24:25]
	v_add_f64 v[18:19], v[84:85], v[18:19]
	v_mul_f64 v[84:85], v[76:77], s[36:37]
	v_add_f64 v[10:11], v[64:65], v[10:11]
	v_add_f64 v[24:25], v[66:67], v[24:25]
	v_fma_f64 v[64:65], v[74:75], s[44:45], v[80:81]
	v_add_f64 v[46:47], v[90:91], v[46:47]
	v_fma_f64 v[66:67], v[72:73], s[16:17], -v[96:97]
	v_mul_f64 v[90:91], v[78:79], s[40:41]
	v_add_f64 v[131:132], v[137:138], v[131:132]
	v_fma_f64 v[80:81], v[74:75], s[30:31], v[98:99]
	v_fma_f64 v[96:97], v[72:73], s[24:25], v[84:85]
	v_mul_f64 v[102:103], v[76:77], s[46:47]
	v_add_f64 v[26:27], v[64:65], v[26:27]
	v_fma_f64 v[64:65], v[72:73], s[24:25], -v[84:85]
	v_add_f64 v[58:59], v[66:67], v[58:59]
	v_fma_f64 v[66:67], v[74:75], s[56:57], v[90:91]
	v_add_f64 v[127:128], v[127:128], v[131:132]
	v_add_f64 v[36:37], v[80:81], v[36:37]
	;; [unrolled: 1-line block ×3, first 2 shown]
	v_fma_f64 v[84:85], v[72:73], s[40:41], v[102:103]
	v_fma_f64 v[88:89], v[74:75], s[46:47], v[90:91]
	v_add_f64 v[44:45], v[64:65], v[44:45]
	v_fma_f64 v[64:65], v[72:73], s[40:41], -v[102:103]
	v_mul_f64 v[90:91], v[78:79], s[20:21]
	v_add_f64 v[56:57], v[66:67], v[56:57]
	v_mul_f64 v[66:67], v[78:79], s[10:11]
	v_mul_f64 v[78:79], v[76:77], s[26:27]
	;; [unrolled: 1-line block ×3, first 2 shown]
	v_add_f64 v[119:120], v[119:120], v[127:128]
	v_fma_f64 v[98:99], v[74:75], s[36:37], v[98:99]
	v_add_f64 v[84:85], v[84:85], v[92:93]
	v_add_f64 v[48:49], v[88:89], v[48:49]
	;; [unrolled: 1-line block ×3, first 2 shown]
	v_fma_f64 v[64:65], v[74:75], s[48:49], v[90:91]
	v_fma_f64 v[88:89], v[74:75], s[26:27], v[90:91]
	;; [unrolled: 1-line block ×5, first 2 shown]
	v_fma_f64 v[74:75], v[72:73], s[20:21], -v[78:79]
	v_fma_f64 v[78:79], v[72:73], s[10:11], v[76:77]
	v_fma_f64 v[72:73], v[72:73], s[10:11], -v[76:77]
	v_mul_f64 v[76:77], v[40:41], s[40:41]
	v_mul_f64 v[96:97], v[42:43], s[46:47]
	v_add_f64 v[108:109], v[108:109], v[119:120]
	v_add_f64 v[22:23], v[88:89], v[22:23]
	;; [unrolled: 1-line block ×5, first 2 shown]
	v_mul_f64 v[88:89], v[40:41], s[24:25]
	v_fma_f64 v[82:83], v[34:35], s[56:57], v[76:77]
	v_fma_f64 v[86:87], v[32:33], s[40:41], v[96:97]
	v_add_f64 v[0:1], v[66:67], v[0:1]
	v_mul_f64 v[66:67], v[42:43], s[30:31]
	v_fma_f64 v[76:77], v[34:35], s[46:47], v[76:77]
	v_fma_f64 v[90:91], v[32:33], s[40:41], -v[96:97]
	v_add_f64 v[100:101], v[100:101], v[108:109]
	v_add_f64 v[2:3], v[72:73], v[2:3]
	;; [unrolled: 1-line block ×4, first 2 shown]
	v_fma_f64 v[12:13], v[34:35], s[36:37], v[88:89]
	v_mul_f64 v[82:83], v[40:41], s[34:35]
	v_fma_f64 v[86:87], v[32:33], s[24:25], v[66:67]
	v_add_f64 v[14:15], v[76:77], v[14:15]
	v_add_f64 v[76:77], v[90:91], v[6:7]
	v_mul_f64 v[6:7], v[42:43], s[38:39]
	v_add_f64 v[20:21], v[64:65], v[20:21]
	v_add_f64 v[64:65], v[92:93], v[100:101]
	v_fma_f64 v[88:89], v[34:35], s[30:31], v[88:89]
	v_fma_f64 v[66:67], v[32:33], s[24:25], -v[66:67]
	v_add_f64 v[12:13], v[12:13], v[28:29]
	v_fma_f64 v[28:29], v[34:35], s[54:55], v[82:83]
	v_add_f64 v[86:87], v[86:87], v[62:63]
	v_mul_f64 v[62:63], v[40:41], s[20:21]
	v_mul_f64 v[90:91], v[42:43], s[26:27]
	v_fma_f64 v[92:93], v[32:33], s[34:35], v[6:7]
	v_add_f64 v[38:39], v[115:116], v[38:39]
	v_add_f64 v[52:53], v[88:89], v[52:53]
	;; [unrolled: 1-line block ×3, first 2 shown]
	v_fma_f64 v[30:31], v[34:35], s[38:39], v[82:83]
	v_add_f64 v[28:29], v[28:29], v[54:55]
	v_fma_f64 v[6:7], v[32:33], s[34:35], -v[6:7]
	v_fma_f64 v[54:55], v[34:35], s[48:49], v[62:63]
	v_fma_f64 v[82:83], v[32:33], s[20:21], v[90:91]
	v_add_f64 v[88:89], v[92:93], v[94:95]
	v_mul_f64 v[92:93], v[40:41], s[16:17]
	v_mul_f64 v[94:95], v[42:43], s[28:29]
	v_add_f64 v[38:39], v[106:107], v[38:39]
	v_add_f64 v[18:19], v[30:31], v[18:19]
	v_fma_f64 v[30:31], v[34:35], s[26:27], v[62:63]
	v_add_f64 v[96:97], v[6:7], v[10:11]
	v_add_f64 v[6:7], v[54:55], v[24:25]
	;; [unrolled: 1-line block ×3, first 2 shown]
	v_fma_f64 v[10:11], v[32:33], s[20:21], -v[90:91]
	v_fma_f64 v[46:47], v[34:35], s[44:45], v[92:93]
	v_fma_f64 v[54:55], v[32:33], s[16:17], v[94:95]
	v_mul_f64 v[62:63], v[40:41], s[4:5]
	v_add_f64 v[38:39], v[98:99], v[38:39]
	v_add_f64 v[26:27], v[30:31], v[26:27]
	v_mul_f64 v[30:31], v[42:43], s[18:19]
	v_fma_f64 v[82:83], v[34:35], s[28:29], v[92:93]
	v_fma_f64 v[90:91], v[32:33], s[16:17], -v[94:95]
	v_add_f64 v[58:59], v[10:11], v[58:59]
	v_add_f64 v[10:11], v[46:47], v[36:37]
	;; [unrolled: 1-line block ×3, first 2 shown]
	v_fma_f64 v[36:37], v[34:35], s[52:53], v[62:63]
	v_mul_f64 v[54:55], v[40:41], s[10:11]
	v_fma_f64 v[80:81], v[32:33], s[4:5], v[30:31]
	v_add_f64 v[38:39], v[82:83], v[38:39]
	v_add_f64 v[82:83], v[90:91], v[44:45]
	v_fma_f64 v[44:45], v[34:35], s[18:19], v[62:63]
	v_fma_f64 v[30:31], v[32:33], s[4:5], -v[30:31]
	v_mul_f64 v[62:63], v[42:43], s[22:23]
	v_add_f64 v[36:37], v[36:37], v[56:57]
	v_fma_f64 v[56:57], v[34:35], s[50:51], v[54:55]
	v_mul_f64 v[40:41], v[40:41], s[6:7]
	v_mul_f64 v[42:43], v[42:43], s[12:13]
	v_add_f64 v[80:81], v[80:81], v[84:85]
	v_add_f64 v[44:45], v[44:45], v[48:49]
	;; [unrolled: 1-line block ×3, first 2 shown]
	v_fma_f64 v[30:31], v[32:33], s[10:11], v[62:63]
	v_fma_f64 v[50:51], v[34:35], s[22:23], v[54:55]
	v_add_f64 v[20:21], v[56:57], v[20:21]
	v_fma_f64 v[56:57], v[34:35], s[42:43], v[40:41]
	v_fma_f64 v[34:35], v[34:35], s[12:13], v[40:41]
	v_fma_f64 v[54:55], v[32:33], s[10:11], -v[62:63]
	v_fma_f64 v[62:63], v[32:33], s[6:7], v[42:43]
	v_fma_f64 v[32:33], v[32:33], s[6:7], -v[42:43]
	v_add_f64 v[40:41], v[30:31], v[64:65]
	v_add_f64 v[22:23], v[50:51], v[22:23]
	s_load_dwordx2 s[58:59], s[2:3], 0x0
	v_add_f64 v[30:31], v[56:57], v[60:61]
	v_add_f64 v[0:1], v[34:35], v[0:1]
	s_movk_i32 s2, 0x88
	v_add_f64 v[56:57], v[62:63], v[78:79]
	v_add_f64 v[60:61], v[32:33], v[2:3]
	;; [unrolled: 1-line block ×3, first 2 shown]
	v_mad_u32_u24 v62, v112, s2, 0
	v_lshlrev_b32_e32 v63, 7, v112
	ds_write2_b64 v62, v[4:5], v[8:9] offset1:1
	ds_write2_b64 v62, v[12:13], v[28:29] offset0:2 offset1:3
	ds_write2_b64 v62, v[6:7], v[10:11] offset0:4 offset1:5
	;; [unrolled: 1-line block ×7, first 2 shown]
	ds_write_b64 v62, v[14:15] offset:128
	v_sub_u32_e32 v28, v62, v63
	v_add_u32_e32 v29, 0x800, v28
	v_add_u32_e32 v104, 0xc00, v28
	;; [unrolled: 1-line block ×3, first 2 shown]
	s_movk_i32 s2, 0xf1
	s_waitcnt lgkmcnt(0)
	; wave barrier
	s_waitcnt lgkmcnt(0)
	ds_read2_b64 v[4:7], v28 offset1:51
	ds_read2_b64 v[0:3], v28 offset0:102 offset1:153
	ds_read2_b64 v[30:33], v28 offset0:204 offset1:255
	;; [unrolled: 1-line block ×7, first 2 shown]
	ds_read_b64 v[84:85], v28 offset:6528
	s_waitcnt lgkmcnt(0)
	; wave barrier
	s_waitcnt lgkmcnt(0)
	ds_write2_b64 v62, v[16:17], v[72:73] offset1:1
	ds_write2_b64 v62, v[86:87], v[88:89] offset0:2 offset1:3
	ds_write2_b64 v62, v[24:25], v[46:47] offset0:4 offset1:5
	;; [unrolled: 1-line block ×7, first 2 shown]
	ds_write_b64 v62, v[76:77] offset:128
	v_mul_lo_u16_sdwa v16, v112, s2 dst_sel:DWORD dst_unused:UNUSED_PAD src0_sel:BYTE_0 src1_sel:DWORD
	v_lshrrev_b16_e32 v58, 12, v16
	v_mul_lo_u16_e32 v16, 17, v58
	v_sub_u16_e32 v59, v112, v16
	v_mov_b32_e32 v16, 8
	v_lshlrev_b32_sdwa v16, v16, v59 dst_sel:DWORD dst_unused:UNUSED_PAD src0_sel:DWORD src1_sel:BYTE_0
	s_waitcnt lgkmcnt(0)
	; wave barrier
	s_waitcnt lgkmcnt(0)
	global_load_dwordx4 v[38:41], v16, s[8:9] offset:16
	global_load_dwordx4 v[46:49], v16, s[8:9] offset:32
	;; [unrolled: 1-line block ×11, first 2 shown]
	global_load_dwordx4 v[121:124], v16, s[8:9]
	global_load_dwordx4 v[125:128], v16, s[8:9] offset:176
	global_load_dwordx4 v[20:23], v16, s[8:9] offset:192
	;; [unrolled: 1-line block ×3, first 2 shown]
	s_nop 0
	global_load_dwordx4 v[16:19], v16, s[8:9] offset:224
	ds_read2_b64 v[72:75], v28 offset0:102 offset1:153
	ds_read2_b64 v[129:132], v28 offset0:204 offset1:255
	v_mul_u32_u24_e32 v58, 0x908, v58
	v_sub_u32_e32 v63, 0, v63
	v_cmp_gt_u32_e64 s[2:3], 34, v112
	s_waitcnt vmcnt(15) lgkmcnt(1)
	v_mul_f64 v[60:61], v[72:73], v[40:41]
	v_mul_f64 v[40:41], v[0:1], v[40:41]
	s_waitcnt vmcnt(14)
	v_mul_f64 v[76:77], v[74:75], v[48:49]
	v_mul_f64 v[48:49], v[2:3], v[48:49]
	v_fma_f64 v[86:87], v[0:1], v[38:39], -v[60:61]
	s_waitcnt vmcnt(13) lgkmcnt(0)
	v_mul_f64 v[60:61], v[129:130], v[56:57]
	v_fma_f64 v[78:79], v[72:73], v[38:39], v[40:41]
	v_fma_f64 v[80:81], v[2:3], v[46:47], -v[76:77]
	ds_read2_b64 v[0:3], v29 offset0:50 offset1:101
	s_waitcnt vmcnt(12)
	v_mul_f64 v[40:41], v[131:132], v[66:67]
	v_fma_f64 v[82:83], v[74:75], v[46:47], v[48:49]
	v_mul_f64 v[38:39], v[30:31], v[56:57]
	v_mul_f64 v[66:67], v[32:33], v[66:67]
	v_fma_f64 v[74:75], v[30:31], v[54:55], -v[60:61]
	s_waitcnt vmcnt(11) lgkmcnt(0)
	v_mul_f64 v[46:47], v[0:1], v[90:91]
	v_mul_f64 v[60:61], v[34:35], v[90:91]
	s_waitcnt vmcnt(10)
	v_mul_f64 v[76:77], v[2:3], v[94:95]
	v_fma_f64 v[56:57], v[32:33], v[64:65], -v[40:41]
	ds_read2_b64 v[30:33], v29 offset0:152 offset1:203
	v_mul_f64 v[40:41], v[36:37], v[94:95]
	s_waitcnt vmcnt(7)
	v_mul_f64 v[90:91], v[50:51], v[109:110]
	v_fma_f64 v[72:73], v[129:130], v[54:55], v[38:39]
	v_fma_f64 v[48:49], v[34:35], v[88:89], -v[46:47]
	v_fma_f64 v[46:47], v[0:1], v[88:89], v[60:61]
	s_waitcnt lgkmcnt(0)
	v_mul_f64 v[0:1], v[30:31], v[98:99]
	v_fma_f64 v[54:55], v[131:132], v[64:65], v[66:67]
	ds_read2_b64 v[64:67], v104 offset0:126 offset1:177
	v_fma_f64 v[38:39], v[36:37], v[92:93], -v[76:77]
	v_fma_f64 v[40:41], v[2:3], v[92:93], v[40:41]
	v_mul_f64 v[36:37], v[42:43], v[98:99]
	v_mul_f64 v[60:61], v[32:33], v[102:103]
	s_waitcnt lgkmcnt(0)
	v_mul_f64 v[88:89], v[64:65], v[109:110]
	v_fma_f64 v[34:35], v[42:43], v[96:97], -v[0:1]
	ds_read2_b64 v[0:3], v28 offset1:51
	ds_read2_b64 v[92:95], v106 offset0:100 offset1:151
	s_waitcnt vmcnt(6)
	v_mul_f64 v[98:99], v[66:67], v[115:116]
	v_fma_f64 v[42:43], v[64:65], v[107:108], v[90:91]
	v_mul_f64 v[76:77], v[44:45], v[102:103]
	s_waitcnt vmcnt(4) lgkmcnt(1)
	v_mul_f64 v[90:91], v[2:3], v[123:124]
	v_fma_f64 v[30:31], v[30:31], v[96:97], v[36:37]
	v_fma_f64 v[36:37], v[44:45], v[100:101], -v[60:61]
	v_fma_f64 v[44:45], v[50:51], v[107:108], -v[88:89]
	v_mul_f64 v[88:89], v[6:7], v[123:124]
	v_mul_f64 v[96:97], v[52:53], v[115:116]
	v_fma_f64 v[50:51], v[52:53], v[113:114], -v[98:99]
	s_waitcnt vmcnt(3) lgkmcnt(0)
	v_mul_f64 v[98:99], v[92:93], v[127:128]
	v_fma_f64 v[90:91], v[6:7], v[121:122], -v[90:91]
	ds_read_b64 v[64:65], v28 offset:6528
	v_fma_f64 v[32:33], v[32:33], v[100:101], v[76:77]
	v_mul_f64 v[60:61], v[84:85], v[119:120]
	v_mul_f64 v[100:101], v[12:13], v[127:128]
	v_fma_f64 v[88:89], v[2:3], v[121:122], v[88:89]
	s_waitcnt lgkmcnt(0)
	v_mul_f64 v[102:103], v[64:65], v[119:120]
	v_fma_f64 v[52:53], v[66:67], v[113:114], v[96:97]
	s_waitcnt vmcnt(2)
	v_mul_f64 v[2:3], v[94:95], v[22:23]
	v_fma_f64 v[66:67], v[12:13], v[125:126], -v[98:99]
	v_add_f64 v[12:13], v[4:5], v[90:91]
	ds_read2_b64 v[107:110], v106 offset0:202 offset1:253
	v_fma_f64 v[76:77], v[64:65], v[117:118], v[60:61]
	v_fma_f64 v[64:65], v[92:93], v[125:126], v[100:101]
	v_fma_f64 v[92:93], v[84:85], v[117:118], -v[102:103]
	v_mul_f64 v[22:23], v[14:15], v[22:23]
	v_fma_f64 v[84:85], v[14:15], v[20:21], -v[2:3]
	s_waitcnt vmcnt(1) lgkmcnt(0)
	v_mul_f64 v[2:3], v[107:108], v[26:27]
	v_mul_f64 v[14:15], v[8:9], v[26:27]
	s_waitcnt vmcnt(0)
	v_mul_f64 v[26:27], v[109:110], v[18:19]
	v_mul_f64 v[18:19], v[10:11], v[18:19]
	v_add_f64 v[12:13], v[12:13], v[86:87]
	v_add_f64 v[6:7], v[88:89], -v[76:77]
	v_add_f64 v[60:61], v[90:91], v[92:93]
	v_fma_f64 v[96:97], v[94:95], v[20:21], v[22:23]
	v_fma_f64 v[102:103], v[8:9], v[24:25], -v[2:3]
	v_fma_f64 v[100:101], v[107:108], v[24:25], v[14:15]
	v_fma_f64 v[104:105], v[10:11], v[16:17], -v[26:27]
	v_fma_f64 v[98:99], v[109:110], v[16:17], v[18:19]
	v_add_f64 v[8:9], v[12:13], v[80:81]
	v_mul_f64 v[113:114], v[6:7], s[36:37]
	v_mul_f64 v[20:21], v[6:7], s[48:49]
	;; [unrolled: 1-line block ×4, first 2 shown]
	v_add_f64 v[115:116], v[82:83], -v[100:101]
	v_add_f64 v[109:110], v[86:87], v[104:105]
	v_add_f64 v[24:25], v[78:79], -v[98:99]
	v_add_f64 v[8:9], v[8:9], v[74:75]
	v_fma_f64 v[10:11], v[60:61], s[24:25], -v[113:114]
	v_fma_f64 v[12:13], v[60:61], s[24:25], v[113:114]
	v_fma_f64 v[14:15], v[60:61], s[20:21], -v[20:21]
	v_fma_f64 v[18:19], v[60:61], s[20:21], v[20:21]
	v_mul_f64 v[20:21], v[6:7], s[22:23]
	v_mul_f64 v[26:27], v[6:7], s[28:29]
	;; [unrolled: 1-line block ×3, first 2 shown]
	v_add_f64 v[8:9], v[8:9], v[56:57]
	v_mul_f64 v[94:95], v[6:7], s[38:39]
	v_mul_f64 v[6:7], v[6:7], s[46:47]
	v_add_f64 v[10:11], v[4:5], v[10:11]
	v_add_f64 v[123:124], v[80:81], v[102:103]
	v_mul_f64 v[125:126], v[115:116], s[52:53]
	v_add_f64 v[127:128], v[72:73], -v[96:97]
	v_fma_f64 v[121:122], v[109:110], s[20:21], -v[113:114]
	v_add_f64 v[8:9], v[8:9], v[48:49]
	v_fma_f64 v[22:23], v[60:61], s[4:5], -v[2:3]
	v_fma_f64 v[2:3], v[60:61], s[4:5], v[2:3]
	v_fma_f64 v[107:108], v[60:61], s[6:7], -v[16:17]
	v_fma_f64 v[16:17], v[60:61], s[6:7], v[16:17]
	;; [unrolled: 2-line block ×4, first 2 shown]
	v_fma_f64 v[129:130], v[60:61], s[34:35], -v[94:95]
	v_add_f64 v[8:9], v[8:9], v[38:39]
	v_fma_f64 v[94:95], v[60:61], s[34:35], v[94:95]
	v_fma_f64 v[131:132], v[60:61], s[40:41], -v[6:7]
	v_add_f64 v[10:11], v[121:122], v[10:11]
	v_fma_f64 v[121:122], v[123:124], s[4:5], -v[125:126]
	v_add_f64 v[133:134], v[74:75], v[84:85]
	v_mul_f64 v[135:136], v[127:128], s[42:43]
	v_fma_f64 v[6:7], v[60:61], s[40:41], v[6:7]
	v_add_f64 v[60:61], v[54:55], -v[64:65]
	v_add_f64 v[8:9], v[8:9], v[34:35]
	v_add_f64 v[137:138], v[56:57], v[66:67]
	v_add_f64 v[141:142], v[46:47], -v[52:53]
	v_add_f64 v[10:11], v[121:122], v[10:11]
	v_add_f64 v[143:144], v[4:5], v[107:108]
	v_fma_f64 v[121:122], v[133:134], s[6:7], -v[135:136]
	v_add_f64 v[147:148], v[40:41], -v[42:43]
	v_mul_f64 v[139:140], v[60:61], s[22:23]
	v_add_f64 v[8:9], v[8:9], v[36:37]
	v_add_f64 v[149:150], v[38:39], v[44:45]
	v_mul_f64 v[145:146], v[141:142], s[28:29]
	v_add_f64 v[153:154], v[30:31], -v[32:33]
	v_mul_f64 v[155:156], v[24:25], s[42:43]
	v_add_f64 v[10:11], v[121:122], v[10:11]
	v_add_f64 v[121:122], v[48:49], v[50:51]
	v_fma_f64 v[107:108], v[137:138], s[10:11], -v[139:140]
	v_add_f64 v[8:9], v[8:9], v[44:45]
	v_mul_f64 v[151:152], v[147:148], s[38:39]
	v_mul_f64 v[157:158], v[24:25], s[28:29]
	;; [unrolled: 1-line block ×4, first 2 shown]
	v_add_f64 v[14:15], v[4:5], v[14:15]
	v_add_f64 v[22:23], v[4:5], v[22:23]
	;; [unrolled: 1-line block ×3, first 2 shown]
	v_fma_f64 v[107:108], v[121:122], s[16:17], -v[145:146]
	v_add_f64 v[8:9], v[8:9], v[50:51]
	v_add_f64 v[159:160], v[34:35], v[36:37]
	v_mul_f64 v[161:162], v[153:154], s[46:47]
	v_fma_f64 v[163:164], v[109:110], s[6:7], -v[155:156]
	v_fma_f64 v[165:166], v[109:110], s[16:17], -v[157:158]
	v_mul_f64 v[167:168], v[115:116], s[28:29]
	v_mul_f64 v[169:170], v[115:116], s[56:57]
	v_add_f64 v[10:11], v[107:108], v[10:11]
	v_fma_f64 v[107:108], v[149:150], s[34:35], -v[151:152]
	v_add_f64 v[119:120], v[4:5], v[119:120]
	v_add_f64 v[129:130], v[4:5], v[129:130]
	v_fma_f64 v[209:210], v[109:110], s[10:11], -v[201:202]
	v_fma_f64 v[211:212], v[109:110], s[4:5], -v[203:204]
	v_mul_f64 v[213:214], v[115:116], s[36:37]
	v_mul_f64 v[215:216], v[115:116], s[42:43]
	v_add_f64 v[8:9], v[8:9], v[66:67]
	v_add_f64 v[10:11], v[107:108], v[10:11]
	v_fma_f64 v[107:108], v[159:160], s[40:41], -v[161:162]
	v_add_f64 v[14:15], v[163:164], v[14:15]
	v_add_f64 v[22:23], v[165:166], v[22:23]
	v_fma_f64 v[163:164], v[123:124], s[16:17], -v[167:168]
	v_fma_f64 v[165:166], v[123:124], s[40:41], -v[169:170]
	v_mul_f64 v[171:172], v[127:128], s[46:47]
	v_mul_f64 v[173:174], v[127:128], s[50:51]
	v_add_f64 v[119:120], v[209:210], v[119:120]
	v_add_f64 v[129:130], v[211:212], v[129:130]
	v_fma_f64 v[209:210], v[123:124], s[24:25], -v[213:214]
	v_fma_f64 v[211:212], v[123:124], s[6:7], -v[215:216]
	v_mul_f64 v[217:218], v[127:128], s[38:39]
	v_mul_f64 v[219:220], v[127:128], s[44:45]
	v_add_f64 v[12:13], v[4:5], v[12:13]
	v_add_f64 v[18:19], v[4:5], v[18:19]
	;; [unrolled: 1-line block ×14, first 2 shown]
	v_fma_f64 v[22:23], v[133:134], s[40:41], -v[171:172]
	v_fma_f64 v[163:164], v[133:134], s[10:11], -v[173:174]
	v_mul_f64 v[165:166], v[60:61], s[54:55]
	v_mul_f64 v[175:176], v[60:61], s[26:27]
	v_add_f64 v[119:120], v[209:210], v[119:120]
	v_add_f64 v[129:130], v[211:212], v[129:130]
	v_fma_f64 v[209:210], v[133:134], s[34:35], -v[217:218]
	v_fma_f64 v[211:212], v[133:134], s[16:17], -v[219:220]
	v_mul_f64 v[225:226], v[60:61], s[12:13]
	v_mov_b32_e32 v107, 3
	v_lshlrev_b32_sdwa v59, v107, v59 dst_sel:DWORD dst_unused:UNUSED_PAD src0_sel:DWORD src1_sel:BYTE_0
	v_add_f64 v[8:9], v[8:9], v[102:103]
	v_add3_u32 v107, 0, v58, v59
	v_add_f64 v[10:11], v[22:23], v[10:11]
	v_add_f64 v[14:15], v[163:164], v[14:15]
	v_fma_f64 v[22:23], v[137:138], s[34:35], -v[165:166]
	v_fma_f64 v[58:59], v[137:138], s[20:21], -v[175:176]
	v_mul_f64 v[163:164], v[141:142], s[50:51]
	v_mul_f64 v[177:178], v[141:142], s[36:37]
	;; [unrolled: 1-line block ×4, first 2 shown]
	v_add_f64 v[119:120], v[209:210], v[119:120]
	v_add_f64 v[129:130], v[211:212], v[129:130]
	v_fma_f64 v[209:210], v[137:138], s[6:7], -v[225:226]
	v_mul_f64 v[211:212], v[141:142], s[48:49]
	v_mul_f64 v[24:25], v[24:25], s[30:31]
	v_add_f64 v[8:9], v[8:9], v[104:105]
	v_add_f64 v[10:11], v[22:23], v[10:11]
	;; [unrolled: 1-line block ×3, first 2 shown]
	v_fma_f64 v[22:23], v[121:122], s[10:11], -v[163:164]
	v_fma_f64 v[58:59], v[121:122], s[24:25], -v[177:178]
	v_mul_f64 v[183:184], v[147:148], s[18:19]
	v_mul_f64 v[185:186], v[147:148], s[42:43]
	v_fma_f64 v[187:188], v[109:110], s[40:41], -v[179:180]
	v_fma_f64 v[189:190], v[109:110], s[34:35], -v[181:182]
	v_mul_f64 v[191:192], v[115:116], s[50:51]
	v_mul_f64 v[193:194], v[115:116], s[26:27]
	v_add_f64 v[119:120], v[209:210], v[119:120]
	v_fma_f64 v[209:210], v[121:122], s[20:21], -v[211:212]
	v_fma_f64 v[235:236], v[109:110], s[24:25], -v[24:25]
	v_mul_f64 v[115:116], v[115:116], s[38:39]
	v_fma_f64 v[24:25], v[109:110], s[24:25], v[24:25]
	v_add_f64 v[8:9], v[8:9], v[92:93]
	v_add_f64 v[10:11], v[22:23], v[10:11]
	;; [unrolled: 1-line block ×3, first 2 shown]
	v_fma_f64 v[22:23], v[149:150], s[4:5], -v[183:184]
	v_fma_f64 v[58:59], v[149:150], s[6:7], -v[185:186]
	v_add_f64 v[143:144], v[187:188], v[143:144]
	v_add_f64 v[117:118], v[189:190], v[117:118]
	v_fma_f64 v[187:188], v[123:124], s[10:11], -v[191:192]
	v_fma_f64 v[189:190], v[123:124], s[20:21], -v[193:194]
	v_mul_f64 v[195:196], v[127:128], s[30:31]
	v_mul_f64 v[197:198], v[127:128], s[52:53]
	v_add_f64 v[119:120], v[209:210], v[119:120]
	v_add_f64 v[131:132], v[235:236], v[131:132]
	v_fma_f64 v[209:210], v[123:124], s[34:35], -v[115:116]
	v_mul_f64 v[127:128], v[127:128], s[26:27]
	v_add_f64 v[4:5], v[24:25], v[4:5]
	v_fma_f64 v[115:116], v[123:124], s[34:35], v[115:116]
	s_waitcnt lgkmcnt(0)
	; wave barrier
	ds_write2_b64 v107, v[8:9], v[6:7] offset1:17
	v_add_f64 v[6:7], v[22:23], v[10:11]
	v_add_f64 v[10:11], v[58:59], v[14:15]
	v_add_f64 v[14:15], v[187:188], v[143:144]
	v_add_f64 v[22:23], v[189:190], v[117:118]
	v_fma_f64 v[58:59], v[133:134], s[24:25], -v[195:196]
	v_fma_f64 v[117:118], v[133:134], s[4:5], -v[197:198]
	v_mul_f64 v[143:144], v[60:61], s[52:53]
	v_mul_f64 v[187:188], v[60:61], s[46:47]
	v_mul_f64 v[227:228], v[60:61], s[36:37]
	v_add_f64 v[24:25], v[209:210], v[131:132]
	v_fma_f64 v[131:132], v[133:134], s[20:21], -v[127:128]
	v_mul_f64 v[60:61], v[60:61], s[28:29]
	v_add_f64 v[4:5], v[115:116], v[4:5]
	v_fma_f64 v[115:116], v[133:134], s[20:21], v[127:128]
	v_add_f64 v[14:15], v[58:59], v[14:15]
	v_add_f64 v[22:23], v[117:118], v[22:23]
	v_fma_f64 v[58:59], v[137:138], s[4:5], -v[143:144]
	v_fma_f64 v[117:118], v[137:138], s[40:41], -v[187:188]
	v_mul_f64 v[205:206], v[141:142], s[38:39]
	v_add_f64 v[24:25], v[131:132], v[24:25]
	v_fma_f64 v[127:128], v[137:138], s[16:17], -v[60:61]
	v_add_f64 v[4:5], v[115:116], v[4:5]
	v_fma_f64 v[60:61], v[137:138], s[16:17], v[60:61]
	v_fma_f64 v[115:116], v[109:110], s[10:11], v[201:202]
	v_add_f64 v[14:15], v[58:59], v[14:15]
	v_add_f64 v[22:23], v[117:118], v[22:23]
	v_fma_f64 v[58:59], v[121:122], s[34:35], -v[205:206]
	v_mul_f64 v[117:118], v[141:142], s[12:13]
	v_add_f64 v[24:25], v[127:128], v[24:25]
	v_fma_f64 v[127:128], v[109:110], s[4:5], v[203:204]
	v_fma_f64 v[131:132], v[109:110], s[40:41], v[179:180]
	;; [unrolled: 1-line block ×6, first 2 shown]
	v_add_f64 v[4:5], v[60:61], v[4:5]
	v_mul_f64 v[60:61], v[141:142], s[18:19]
	v_add_f64 v[14:15], v[58:59], v[14:15]
	v_fma_f64 v[58:59], v[121:122], s[6:7], -v[117:118]
	v_mul_f64 v[221:222], v[147:148], s[44:45]
	v_add_f64 v[26:27], v[115:116], v[26:27]
	v_add_f64 v[94:95], v[127:128], v[94:95]
	;; [unrolled: 1-line block ×6, first 2 shown]
	v_fma_f64 v[108:109], v[121:122], s[4:5], -v[60:61]
	v_fma_f64 v[110:111], v[123:124], s[24:25], v[213:214]
	v_fma_f64 v[113:114], v[123:124], s[6:7], v[215:216]
	;; [unrolled: 1-line block ×5, first 2 shown]
	v_add_f64 v[18:19], v[155:156], v[18:19]
	v_fma_f64 v[125:126], v[123:124], s[4:5], v[125:126]
	v_fma_f64 v[131:132], v[123:124], s[16:17], v[167:168]
	;; [unrolled: 1-line block ×3, first 2 shown]
	v_add_f64 v[22:23], v[58:59], v[22:23]
	v_fma_f64 v[58:59], v[149:150], s[16:17], -v[221:222]
	v_add_f64 v[24:25], v[108:109], v[24:25]
	v_add_f64 v[26:27], v[110:111], v[26:27]
	;; [unrolled: 1-line block ×5, first 2 shown]
	v_fma_f64 v[108:109], v[133:134], s[34:35], v[217:218]
	v_fma_f64 v[110:111], v[133:134], s[16:17], v[219:220]
	;; [unrolled: 1-line block ×4, first 2 shown]
	v_add_f64 v[4:5], v[60:61], v[4:5]
	v_mul_f64 v[60:61], v[147:148], s[22:23]
	v_add_f64 v[12:13], v[125:126], v[12:13]
	v_add_f64 v[18:19], v[131:132], v[18:19]
	;; [unrolled: 1-line block ×3, first 2 shown]
	v_fma_f64 v[123:124], v[133:134], s[6:7], v[135:136]
	v_fma_f64 v[125:126], v[133:134], s[40:41], v[171:172]
	;; [unrolled: 1-line block ×3, first 2 shown]
	v_fma_f64 v[233:234], v[137:138], s[24:25], -v[227:228]
	v_add_f64 v[14:15], v[58:59], v[14:15]
	v_mul_f64 v[58:59], v[141:142], s[46:47]
	v_add_f64 v[26:27], v[108:109], v[26:27]
	v_add_f64 v[94:95], v[110:111], v[94:95]
	;; [unrolled: 1-line block ×4, first 2 shown]
	v_fma_f64 v[108:109], v[149:150], s[10:11], -v[60:61]
	v_fma_f64 v[110:111], v[137:138], s[6:7], v[225:226]
	v_fma_f64 v[113:114], v[137:138], s[24:25], v[227:228]
	;; [unrolled: 1-line block ×4, first 2 shown]
	v_add_f64 v[12:13], v[123:124], v[12:13]
	v_add_f64 v[18:19], v[125:126], v[18:19]
	v_fma_f64 v[123:124], v[137:138], s[40:41], v[187:188]
	v_fma_f64 v[125:126], v[137:138], s[10:11], v[139:140]
	v_add_f64 v[2:3], v[127:128], v[2:3]
	v_fma_f64 v[127:128], v[137:138], s[34:35], v[165:166]
	v_fma_f64 v[131:132], v[137:138], s[20:21], v[175:176]
	v_mul_f64 v[223:224], v[147:148], s[36:37]
	v_add_f64 v[129:130], v[233:234], v[129:130]
	v_fma_f64 v[233:234], v[121:122], s[40:41], -v[58:59]
	v_mul_f64 v[239:240], v[147:148], s[46:47]
	v_mul_f64 v[241:242], v[147:148], s[26:27]
	v_add_f64 v[24:25], v[108:109], v[24:25]
	v_add_f64 v[26:27], v[110:111], v[26:27]
	v_add_f64 v[94:95], v[113:114], v[94:95]
	v_add_f64 v[16:17], v[115:116], v[16:17]
	v_fma_f64 v[108:109], v[121:122], s[20:21], v[211:212]
	v_fma_f64 v[58:59], v[121:122], s[40:41], v[58:59]
	;; [unrolled: 1-line block ×3, first 2 shown]
	v_add_f64 v[4:5], v[60:61], v[4:5]
	v_mul_f64 v[60:61], v[153:154], s[12:13]
	v_add_f64 v[20:21], v[123:124], v[20:21]
	v_add_f64 v[12:13], v[125:126], v[12:13]
	v_fma_f64 v[113:114], v[121:122], s[6:7], v[117:118]
	v_fma_f64 v[115:116], v[121:122], s[16:17], v[145:146]
	v_add_f64 v[18:19], v[127:128], v[18:19]
	v_add_f64 v[2:3], v[131:132], v[2:3]
	v_fma_f64 v[117:118], v[121:122], s[10:11], v[163:164]
	v_fma_f64 v[121:122], v[121:122], s[24:25], v[177:178]
	v_mul_f64 v[8:9], v[153:154], s[30:31]
	v_mul_f64 v[199:200], v[153:154], s[38:39]
	v_fma_f64 v[229:230], v[149:150], s[24:25], -v[223:224]
	v_mul_f64 v[231:232], v[153:154], s[26:27]
	v_mul_f64 v[237:238], v[153:154], s[28:29]
	v_add_f64 v[129:130], v[233:234], v[129:130]
	v_fma_f64 v[233:234], v[149:150], s[40:41], -v[239:240]
	v_fma_f64 v[235:236], v[149:150], s[20:21], -v[241:242]
	v_mul_f64 v[243:244], v[153:154], s[18:19]
	v_mul_f64 v[245:246], v[153:154], s[22:23]
	v_add_f64 v[26:27], v[108:109], v[26:27]
	v_add_f64 v[58:59], v[58:59], v[94:95]
	;; [unrolled: 1-line block ×3, first 2 shown]
	v_fma_f64 v[94:95], v[159:160], s[6:7], -v[60:61]
	v_fma_f64 v[108:109], v[149:150], s[40:41], v[239:240]
	v_fma_f64 v[110:111], v[149:150], s[20:21], v[241:242]
	v_add_f64 v[20:21], v[113:114], v[20:21]
	v_add_f64 v[12:13], v[115:116], v[12:13]
	v_fma_f64 v[113:114], v[149:150], s[16:17], v[221:222]
	v_fma_f64 v[115:116], v[149:150], s[24:25], v[223:224]
	v_add_f64 v[18:19], v[117:118], v[18:19]
	v_add_f64 v[2:3], v[121:122], v[2:3]
	v_fma_f64 v[121:122], v[149:150], s[4:5], v[183:184]
	v_fma_f64 v[123:124], v[149:150], s[6:7], v[185:186]
	;; [unrolled: 1-line block ×3, first 2 shown]
	v_fma_f64 v[189:190], v[159:160], s[24:25], -v[8:9]
	v_fma_f64 v[207:208], v[159:160], s[34:35], -v[199:200]
	v_add_f64 v[22:23], v[229:230], v[22:23]
	v_fma_f64 v[229:230], v[159:160], s[20:21], -v[231:232]
	v_fma_f64 v[209:210], v[159:160], s[16:17], -v[237:238]
	v_add_f64 v[119:120], v[233:234], v[119:120]
	v_add_f64 v[129:130], v[235:236], v[129:130]
	v_fma_f64 v[233:234], v[159:160], s[4:5], -v[243:244]
	v_fma_f64 v[235:236], v[159:160], s[10:11], -v[245:246]
	v_fma_f64 v[60:61], v[159:160], s[6:7], v[60:61]
	v_add_f64 v[24:25], v[94:95], v[24:25]
	v_add_f64 v[26:27], v[108:109], v[26:27]
	;; [unrolled: 1-line block ×3, first 2 shown]
	v_fma_f64 v[94:95], v[159:160], s[4:5], v[243:244]
	v_fma_f64 v[108:109], v[159:160], s[10:11], v[245:246]
	v_add_f64 v[16:17], v[113:114], v[16:17]
	v_add_f64 v[20:21], v[115:116], v[20:21]
	v_fma_f64 v[110:111], v[159:160], s[20:21], v[231:232]
	v_fma_f64 v[113:114], v[159:160], s[16:17], v[237:238]
	v_add_f64 v[18:19], v[121:122], v[18:19]
	v_add_f64 v[2:3], v[123:124], v[2:3]
	v_fma_f64 v[8:9], v[159:160], s[24:25], v[8:9]
	v_fma_f64 v[115:116], v[159:160], s[34:35], v[199:200]
	v_add_f64 v[12:13], v[117:118], v[12:13]
	v_fma_f64 v[117:118], v[159:160], s[40:41], v[161:162]
	v_add_f64 v[6:7], v[189:190], v[6:7]
	v_add_f64 v[10:11], v[207:208], v[10:11]
	;; [unrolled: 1-line block ×14, first 2 shown]
	ds_write2_b64 v107, v[6:7], v[10:11] offset0:34 offset1:51
	ds_write2_b64 v107, v[14:15], v[22:23] offset0:68 offset1:85
	;; [unrolled: 1-line block ×7, first 2 shown]
	ds_write_b64 v107, v[60:61] offset:2176
	v_add_u32_e32 v2, 0x400, v28
	s_waitcnt lgkmcnt(0)
	; wave barrier
	s_waitcnt lgkmcnt(0)
	ds_read_b64 v[94:95], v28 offset:6256
	ds_read2_b64 v[6:9], v2 offset0:76 offset1:161
	ds_read2_b64 v[2:5], v28 offset1:51
	ds_read2_b64 v[14:17], v28 offset0:102 offset1:153
	ds_read2_b64 v[10:13], v106 offset0:66 offset1:117
	;; [unrolled: 1-line block ×5, first 2 shown]
	v_add_u32_e32 v106, v62, v63
                                        ; implicit-def: $vgpr62_vgpr63
	s_and_saveexec_b64 s[60:61], s[2:3]
	s_cbranch_execz .LBB0_15
; %bb.14:
	ds_read_b64 v[58:59], v106 offset:2040
	ds_read_b64 v[60:61], v106 offset:4352
	;; [unrolled: 1-line block ×3, first 2 shown]
.LBB0_15:
	s_or_b64 exec, exec, s[60:61]
	v_add_f64 v[108:109], v[0:1], v[88:89]
	v_add_f64 v[90:91], v[90:91], -v[92:93]
	v_add_f64 v[92:93], v[78:79], v[98:99]
	v_add_f64 v[88:89], v[88:89], v[76:77]
	v_add_f64 v[86:87], v[86:87], -v[104:105]
	v_add_f64 v[80:81], v[80:81], -v[102:103]
	v_add_f64 v[104:105], v[82:83], v[100:101]
	v_add_f64 v[74:75], v[74:75], -v[84:85]
	v_add_f64 v[78:79], v[108:109], v[78:79]
	v_mul_f64 v[102:103], v[90:91], s[36:37]
	v_mul_f64 v[108:109], v[90:91], s[48:49]
	;; [unrolled: 1-line block ×7, first 2 shown]
	v_add_f64 v[78:79], v[78:79], v[82:83]
	v_mul_f64 v[90:91], v[90:91], s[46:47]
	v_mul_f64 v[82:83], v[86:87], s[48:49]
	;; [unrolled: 1-line block ×5, first 2 shown]
	v_fma_f64 v[143:144], v[88:89], s[24:25], v[102:103]
	v_fma_f64 v[102:103], v[88:89], s[24:25], -v[102:103]
	v_add_f64 v[78:79], v[78:79], v[72:73]
	v_fma_f64 v[145:146], v[88:89], s[20:21], v[108:109]
	v_fma_f64 v[108:109], v[88:89], s[20:21], -v[108:109]
	v_fma_f64 v[147:148], v[88:89], s[4:5], v[110:111]
	v_fma_f64 v[110:111], v[88:89], s[4:5], -v[110:111]
	v_fma_f64 v[149:150], v[88:89], s[6:7], v[113:114]
	v_mul_f64 v[127:128], v[86:87], s[54:55]
	v_mul_f64 v[129:130], v[86:87], s[50:51]
	v_add_f64 v[78:79], v[78:79], v[54:55]
	v_mul_f64 v[131:132], v[86:87], s[18:19]
	v_mul_f64 v[86:87], v[86:87], s[30:31]
	;; [unrolled: 1-line block ×6, first 2 shown]
	v_fma_f64 v[113:114], v[88:89], s[6:7], -v[113:114]
	v_add_f64 v[78:79], v[78:79], v[46:47]
	v_fma_f64 v[151:152], v[88:89], s[10:11], v[115:116]
	v_fma_f64 v[115:116], v[88:89], s[10:11], -v[115:116]
	v_fma_f64 v[153:154], v[88:89], s[16:17], v[117:118]
	v_fma_f64 v[117:118], v[88:89], s[16:17], -v[117:118]
	;; [unrolled: 2-line block ×3, first 2 shown]
	v_fma_f64 v[157:158], v[88:89], s[40:41], v[90:91]
	v_add_f64 v[78:79], v[78:79], v[40:41]
	v_fma_f64 v[88:89], v[88:89], s[40:41], -v[90:91]
	v_fma_f64 v[90:91], v[92:93], s[20:21], v[82:83]
	v_fma_f64 v[82:83], v[92:93], s[20:21], -v[82:83]
	v_fma_f64 v[159:160], v[92:93], s[6:7], v[121:122]
	;; [unrolled: 2-line block ×3, first 2 shown]
	v_fma_f64 v[123:124], v[92:93], s[16:17], -v[123:124]
	v_add_f64 v[78:79], v[78:79], v[30:31]
	v_fma_f64 v[163:164], v[92:93], s[40:41], v[125:126]
	v_add_f64 v[143:144], v[0:1], v[143:144]
	v_add_f64 v[102:103], v[0:1], v[102:103]
	v_add_f64 v[145:146], v[0:1], v[145:146]
	v_add_f64 v[108:109], v[0:1], v[108:109]
	v_add_f64 v[147:148], v[0:1], v[147:148]
	v_add_f64 v[110:111], v[0:1], v[110:111]
	v_add_f64 v[78:79], v[78:79], v[32:33]
	v_add_f64 v[149:150], v[0:1], v[149:150]
	v_mul_f64 v[141:142], v[80:81], s[26:27]
	v_fma_f64 v[125:126], v[92:93], s[40:41], -v[125:126]
	v_fma_f64 v[165:166], v[92:93], s[34:35], v[127:128]
	v_fma_f64 v[127:128], v[92:93], s[34:35], -v[127:128]
	v_fma_f64 v[167:168], v[92:93], s[10:11], v[129:130]
	v_fma_f64 v[129:130], v[92:93], s[10:11], -v[129:130]
	v_add_f64 v[78:79], v[78:79], v[42:43]
	v_fma_f64 v[169:170], v[92:93], s[4:5], v[131:132]
	v_fma_f64 v[131:132], v[92:93], s[4:5], -v[131:132]
	v_fma_f64 v[171:172], v[92:93], s[24:25], v[86:87]
	v_fma_f64 v[86:87], v[92:93], s[24:25], -v[86:87]
	v_fma_f64 v[92:93], v[104:105], s[4:5], v[133:134]
	v_fma_f64 v[173:174], v[104:105], s[16:17], v[135:136]
	v_fma_f64 v[135:136], v[104:105], s[16:17], -v[135:136]
	v_add_f64 v[78:79], v[78:79], v[52:53]
	v_fma_f64 v[175:176], v[104:105], s[40:41], v[137:138]
	v_fma_f64 v[137:138], v[104:105], s[40:41], -v[137:138]
	v_fma_f64 v[177:178], v[104:105], s[10:11], v[139:140]
	v_add_f64 v[113:114], v[0:1], v[113:114]
	v_add_f64 v[151:152], v[0:1], v[151:152]
	;; [unrolled: 1-line block ×25, first 2 shown]
	v_mul_f64 v[102:103], v[80:81], s[36:37]
	v_fma_f64 v[108:109], v[104:105], s[20:21], -v[141:142]
	v_fma_f64 v[133:134], v[104:105], s[4:5], -v[133:134]
	v_add_f64 v[78:79], v[78:79], v[98:99]
	v_fma_f64 v[139:140], v[104:105], s[10:11], -v[139:140]
	v_fma_f64 v[179:180], v[104:105], s[20:21], v[141:142]
	v_add_f64 v[123:124], v[167:168], v[153:154]
	v_add_f64 v[117:118], v[129:130], v[117:118]
	;; [unrolled: 1-line block ×3, first 2 shown]
	v_fma_f64 v[84:85], v[104:105], s[24:25], v[102:103]
	v_add_f64 v[108:109], v[108:109], v[115:116]
	v_add_f64 v[76:77], v[78:79], v[76:77]
	;; [unrolled: 1-line block ×4, first 2 shown]
	v_mul_f64 v[121:122], v[80:81], s[42:43]
	v_mul_f64 v[80:81], v[80:81], s[38:39]
	v_fma_f64 v[102:103], v[104:105], s[24:25], -v[102:103]
	v_add_f64 v[72:73], v[72:73], v[96:97]
	v_mul_f64 v[96:97], v[74:75], s[42:43]
	v_add_f64 v[100:101], v[125:126], v[113:114]
	v_add_f64 v[125:126], v[169:170], v[155:156]
	;; [unrolled: 1-line block ×3, first 2 shown]
	v_fma_f64 v[115:116], v[104:105], s[6:7], v[121:122]
	v_fma_f64 v[121:122], v[104:105], s[6:7], -v[121:122]
	v_fma_f64 v[127:128], v[104:105], s[34:35], v[80:81]
	v_fma_f64 v[80:81], v[104:105], s[34:35], -v[80:81]
	v_mul_f64 v[104:105], v[74:75], s[46:47]
	v_add_f64 v[84:85], v[84:85], v[123:124]
	v_add_f64 v[102:103], v[102:103], v[117:118]
	v_mul_f64 v[123:124], v[74:75], s[30:31]
	v_add_f64 v[113:114], v[165:166], v[151:152]
	v_add_f64 v[117:118], v[121:122], v[119:120]
	v_fma_f64 v[119:120], v[72:73], s[6:7], v[96:97]
	v_mul_f64 v[121:122], v[74:75], s[50:51]
	v_add_f64 v[0:1], v[80:81], v[0:1]
	v_fma_f64 v[80:81], v[72:73], s[6:7], -v[96:97]
	v_fma_f64 v[96:97], v[72:73], s[40:41], v[104:105]
	v_add_f64 v[115:116], v[115:116], v[125:126]
	v_fma_f64 v[104:105], v[72:73], s[40:41], -v[104:105]
	v_add_f64 v[100:101], v[139:140], v[100:101]
	v_add_f64 v[86:87], v[119:120], v[86:87]
	v_mul_f64 v[119:120], v[74:75], s[52:53]
	v_fma_f64 v[125:126], v[72:73], s[10:11], v[121:122]
	v_fma_f64 v[121:122], v[72:73], s[10:11], -v[121:122]
	v_add_f64 v[80:81], v[80:81], v[82:83]
	v_add_f64 v[82:83], v[96:97], v[88:89]
	v_fma_f64 v[88:89], v[72:73], s[24:25], v[123:124]
	v_add_f64 v[113:114], v[179:180], v[113:114]
	v_add_f64 v[90:91], v[104:105], v[90:91]
	v_fma_f64 v[96:97], v[72:73], s[24:25], -v[123:124]
	v_fma_f64 v[104:105], v[72:73], s[4:5], v[119:120]
	v_add_f64 v[78:79], v[121:122], v[78:79]
	v_mul_f64 v[121:122], v[74:75], s[38:39]
	v_fma_f64 v[119:120], v[72:73], s[4:5], -v[119:120]
	v_add_f64 v[88:89], v[88:89], v[110:111]
	v_mul_f64 v[110:111], v[74:75], s[44:45]
	v_add_f64 v[56:57], v[56:57], -v[66:67]
	v_add_f64 v[96:97], v[96:97], v[100:101]
	v_add_f64 v[100:101], v[104:105], v[113:114]
	v_mul_f64 v[66:67], v[74:75], s[26:27]
	v_fma_f64 v[74:75], v[72:73], s[34:35], v[121:122]
	v_add_f64 v[104:105], v[119:120], v[108:109]
	v_fma_f64 v[108:109], v[72:73], s[34:35], -v[121:122]
	v_fma_f64 v[113:114], v[72:73], s[16:17], v[110:111]
	v_fma_f64 v[110:111], v[72:73], s[16:17], -v[110:111]
	v_add_f64 v[54:55], v[54:55], v[64:65]
	v_mul_f64 v[64:65], v[56:57], s[22:23]
	v_fma_f64 v[119:120], v[72:73], s[20:21], v[66:67]
	v_add_f64 v[74:75], v[74:75], v[84:85]
	v_fma_f64 v[66:67], v[72:73], s[20:21], -v[66:67]
	v_add_f64 v[72:73], v[108:109], v[102:103]
	v_mul_f64 v[84:85], v[56:57], s[54:55]
	v_add_f64 v[102:103], v[113:114], v[115:116]
	v_add_f64 v[108:109], v[110:111], v[117:118]
	v_fma_f64 v[110:111], v[54:55], s[10:11], v[64:65]
	v_mul_f64 v[113:114], v[56:57], s[26:27]
	v_fma_f64 v[64:65], v[54:55], s[10:11], -v[64:65]
	v_mul_f64 v[115:116], v[56:57], s[52:53]
	v_add_f64 v[0:1], v[66:67], v[0:1]
	v_fma_f64 v[66:67], v[54:55], s[34:35], v[84:85]
	v_fma_f64 v[84:85], v[54:55], s[34:35], -v[84:85]
	v_add_f64 v[48:49], v[48:49], -v[50:51]
	v_add_f64 v[86:87], v[110:111], v[86:87]
	v_mul_f64 v[110:111], v[56:57], s[46:47]
	v_fma_f64 v[117:118], v[54:55], s[20:21], v[113:114]
	v_fma_f64 v[113:114], v[54:55], s[20:21], -v[113:114]
	v_add_f64 v[64:65], v[64:65], v[80:81]
	v_fma_f64 v[80:81], v[54:55], s[4:5], v[115:116]
	v_add_f64 v[66:67], v[66:67], v[82:83]
	v_add_f64 v[82:83], v[84:85], v[90:91]
	v_fma_f64 v[84:85], v[54:55], s[4:5], -v[115:116]
	v_fma_f64 v[90:91], v[54:55], s[40:41], v[110:111]
	v_fma_f64 v[110:111], v[54:55], s[40:41], -v[110:111]
	v_add_f64 v[78:79], v[113:114], v[78:79]
	v_mul_f64 v[113:114], v[56:57], s[12:13]
	v_add_f64 v[80:81], v[80:81], v[88:89]
	v_mul_f64 v[88:89], v[56:57], s[36:37]
	v_mul_f64 v[50:51], v[56:57], s[28:29]
	v_add_f64 v[84:85], v[84:85], v[96:97]
	v_add_f64 v[90:91], v[90:91], v[100:101]
	;; [unrolled: 1-line block ×4, first 2 shown]
	v_fma_f64 v[100:101], v[54:55], s[6:7], -v[113:114]
	v_fma_f64 v[56:57], v[54:55], s[6:7], v[113:114]
	v_fma_f64 v[104:105], v[54:55], s[24:25], v[88:89]
	v_mul_f64 v[52:53], v[48:49], s[28:29]
	v_fma_f64 v[110:111], v[54:55], s[16:17], v[50:51]
	v_fma_f64 v[50:51], v[54:55], s[16:17], -v[50:51]
	v_fma_f64 v[88:89], v[54:55], s[24:25], -v[88:89]
	v_add_f64 v[98:99], v[171:172], v[157:158]
	v_add_f64 v[54:55], v[100:101], v[72:73]
	;; [unrolled: 1-line block ×4, first 2 shown]
	v_mul_f64 v[102:103], v[48:49], s[36:37]
	v_mul_f64 v[74:75], v[48:49], s[50:51]
	v_fma_f64 v[100:101], v[46:47], s[16:17], v[52:53]
	v_add_f64 v[0:1], v[50:51], v[0:1]
	v_fma_f64 v[50:51], v[46:47], s[16:17], -v[52:53]
	v_mul_f64 v[52:53], v[48:49], s[38:39]
	v_add_f64 v[88:89], v[88:89], v[108:109]
	v_add_f64 v[38:39], v[38:39], -v[44:45]
	v_fma_f64 v[108:109], v[46:47], s[24:25], v[102:103]
	v_fma_f64 v[102:103], v[46:47], s[24:25], -v[102:103]
	v_fma_f64 v[104:105], v[46:47], s[10:11], v[74:75]
	v_fma_f64 v[74:75], v[46:47], s[10:11], -v[74:75]
	v_add_f64 v[86:87], v[100:101], v[86:87]
	v_mul_f64 v[100:101], v[48:49], s[12:13]
	v_add_f64 v[50:51], v[50:51], v[64:65]
	v_fma_f64 v[64:65], v[46:47], s[34:35], v[52:53]
	v_fma_f64 v[52:53], v[46:47], s[34:35], -v[52:53]
	v_add_f64 v[78:79], v[102:103], v[78:79]
	v_mul_f64 v[102:103], v[48:49], s[48:49]
	v_add_f64 v[98:99], v[127:128], v[98:99]
	v_add_f64 v[74:75], v[74:75], v[82:83]
	v_fma_f64 v[82:83], v[46:47], s[6:7], v[100:101]
	v_mul_f64 v[44:45], v[48:49], s[18:19]
	v_add_f64 v[64:65], v[64:65], v[80:81]
	v_fma_f64 v[80:81], v[46:47], s[6:7], -v[100:101]
	v_mul_f64 v[100:101], v[48:49], s[46:47]
	v_add_f64 v[52:53], v[52:53], v[84:85]
	v_fma_f64 v[48:49], v[46:47], s[20:21], v[102:103]
	v_fma_f64 v[84:85], v[46:47], s[20:21], -v[102:103]
	v_add_f64 v[40:41], v[40:41], v[42:43]
	v_mul_f64 v[42:43], v[38:39], s[38:39]
	v_add_f64 v[98:99], v[119:120], v[98:99]
	v_add_f64 v[82:83], v[82:83], v[90:91]
	;; [unrolled: 1-line block ×3, first 2 shown]
	v_fma_f64 v[90:91], v[46:47], s[40:41], v[100:101]
	v_fma_f64 v[96:97], v[46:47], s[40:41], -v[100:101]
	v_fma_f64 v[100:101], v[46:47], s[4:5], v[44:45]
	v_fma_f64 v[44:45], v[46:47], s[4:5], -v[44:45]
	v_add_f64 v[48:49], v[48:49], v[56:57]
	v_add_f64 v[54:55], v[84:85], v[54:55]
	v_mul_f64 v[56:57], v[38:39], s[18:19]
	v_fma_f64 v[84:85], v[40:41], s[34:35], v[42:43]
	v_add_f64 v[98:99], v[110:111], v[98:99]
	v_add_f64 v[46:47], v[90:91], v[72:73]
	v_mul_f64 v[90:91], v[38:39], s[42:43]
	v_fma_f64 v[42:43], v[40:41], s[34:35], -v[42:43]
	v_add_f64 v[0:1], v[44:45], v[0:1]
	v_mul_f64 v[44:45], v[38:39], s[44:45]
	v_add_f64 v[66:67], v[104:105], v[66:67]
	v_add_f64 v[72:73], v[96:97], v[88:89]
	v_fma_f64 v[96:97], v[40:41], s[4:5], v[56:57]
	v_fma_f64 v[56:57], v[40:41], s[4:5], -v[56:57]
	v_add_f64 v[84:85], v[84:85], v[86:87]
	v_mul_f64 v[86:87], v[38:39], s[36:37]
	v_add_f64 v[88:89], v[100:101], v[98:99]
	v_fma_f64 v[98:99], v[40:41], s[6:7], v[90:91]
	v_add_f64 v[42:43], v[42:43], v[50:51]
	v_fma_f64 v[50:51], v[40:41], s[6:7], -v[90:91]
	v_fma_f64 v[90:91], v[40:41], s[16:17], v[44:45]
	v_add_f64 v[66:67], v[96:97], v[66:67]
	v_add_f64 v[56:57], v[56:57], v[74:75]
	v_fma_f64 v[44:45], v[40:41], s[16:17], -v[44:45]
	v_fma_f64 v[74:75], v[40:41], s[24:25], v[86:87]
	v_mul_f64 v[96:97], v[38:39], s[46:47]
	v_add_f64 v[92:93], v[125:126], v[92:93]
	v_add_f64 v[50:51], v[50:51], v[78:79]
	;; [unrolled: 1-line block ×3, first 2 shown]
	v_fma_f64 v[64:65], v[40:41], s[24:25], -v[86:87]
	v_mul_f64 v[86:87], v[38:39], s[26:27]
	v_add_f64 v[34:35], v[34:35], -v[36:37]
	v_add_f64 v[44:45], v[44:45], v[52:53]
	v_add_f64 v[52:53], v[74:75], v[82:83]
	v_fma_f64 v[36:37], v[40:41], s[40:41], v[96:97]
	v_fma_f64 v[74:75], v[40:41], s[40:41], -v[96:97]
	v_mul_f64 v[38:39], v[38:39], s[22:23]
	v_add_f64 v[92:93], v[117:118], v[92:93]
	v_fma_f64 v[82:83], v[40:41], s[20:21], -v[86:87]
	v_add_f64 v[30:31], v[30:31], v[32:33]
	v_mul_f64 v[32:33], v[34:35], s[46:47]
	v_add_f64 v[80:81], v[64:65], v[80:81]
	v_add_f64 v[36:37], v[36:37], v[48:49]
	;; [unrolled: 1-line block ×3, first 2 shown]
	v_fma_f64 v[54:55], v[40:41], s[10:11], v[38:39]
	v_mul_f64 v[74:75], v[34:35], s[30:31]
	v_add_f64 v[92:93], v[108:109], v[92:93]
	v_fma_f64 v[64:65], v[40:41], s[20:21], v[86:87]
	v_add_f64 v[72:73], v[82:83], v[72:73]
	v_fma_f64 v[38:39], v[40:41], s[10:11], -v[38:39]
	v_fma_f64 v[40:41], v[30:31], s[40:41], v[32:33]
	v_mul_f64 v[82:83], v[34:35], s[38:39]
	v_fma_f64 v[32:33], v[30:31], s[40:41], -v[32:33]
	v_add_f64 v[54:55], v[54:55], v[88:89]
	v_fma_f64 v[86:87], v[30:31], s[24:25], v[74:75]
	v_fma_f64 v[74:75], v[30:31], s[24:25], -v[74:75]
	v_mul_f64 v[88:89], v[34:35], s[26:27]
	v_add_f64 v[92:93], v[98:99], v[92:93]
	v_add_f64 v[46:47], v[64:65], v[46:47]
	;; [unrolled: 1-line block ×3, first 2 shown]
	v_fma_f64 v[84:85], v[30:31], s[34:35], v[82:83]
	v_add_f64 v[64:65], v[32:33], v[42:43]
	v_fma_f64 v[32:33], v[30:31], s[34:35], -v[82:83]
	v_add_f64 v[38:39], v[38:39], v[0:1]
	v_add_f64 v[42:43], v[86:87], v[66:67]
	;; [unrolled: 1-line block ×3, first 2 shown]
	v_fma_f64 v[66:67], v[30:31], s[20:21], -v[88:89]
	v_mul_f64 v[74:75], v[34:35], s[28:29]
	v_fma_f64 v[56:57], v[30:31], s[20:21], v[88:89]
	v_add_f64 v[82:83], v[84:85], v[92:93]
	v_mul_f64 v[84:85], v[34:35], s[18:19]
	v_add_f64 v[32:33], v[32:33], v[50:51]
	v_mul_f64 v[50:51], v[34:35], s[22:23]
	v_mul_f64 v[34:35], v[34:35], s[12:13]
	v_add_f64 v[44:45], v[66:67], v[44:45]
	v_fma_f64 v[66:67], v[30:31], s[16:17], v[74:75]
	v_add_f64 v[56:57], v[56:57], v[78:79]
	v_fma_f64 v[74:75], v[30:31], s[16:17], -v[74:75]
	v_fma_f64 v[78:79], v[30:31], s[4:5], v[84:85]
	v_fma_f64 v[84:85], v[30:31], s[4:5], -v[84:85]
	v_fma_f64 v[86:87], v[30:31], s[10:11], v[50:51]
	v_fma_f64 v[88:89], v[30:31], s[6:7], v[34:35]
	v_fma_f64 v[34:35], v[30:31], s[6:7], -v[34:35]
	v_fma_f64 v[30:31], v[30:31], s[10:11], -v[50:51]
	v_add_f64 v[50:51], v[66:67], v[52:53]
	v_add_f64 v[52:53], v[74:75], v[80:81]
	;; [unrolled: 1-line block ×8, first 2 shown]
	s_waitcnt lgkmcnt(0)
	; wave barrier
	s_waitcnt lgkmcnt(0)
	ds_write2_b64 v107, v[76:77], v[40:41] offset1:17
	ds_write2_b64 v107, v[42:43], v[82:83] offset0:34 offset1:51
	ds_write2_b64 v107, v[56:57], v[50:51] offset0:68 offset1:85
	;; [unrolled: 1-line block ×7, first 2 shown]
	ds_write_b64 v107, v[64:65] offset:2176
	v_add_u32_e32 v34, 0x400, v106
	v_add_u32_e32 v50, 0x1000, v106
	;; [unrolled: 1-line block ×3, first 2 shown]
	s_waitcnt lgkmcnt(0)
	; wave barrier
	s_waitcnt lgkmcnt(0)
	ds_read2_b64 v[30:33], v106 offset1:51
	ds_read2_b64 v[34:37], v34 offset0:76 offset1:161
	ds_read2_b64 v[38:41], v50 offset0:66 offset1:117
	;; [unrolled: 1-line block ×6, first 2 shown]
	ds_read_b64 v[74:75], v106 offset:6256
                                        ; implicit-def: $vgpr72_vgpr73
	s_and_saveexec_b64 s[4:5], s[2:3]
	s_cbranch_execz .LBB0_17
; %bb.16:
	ds_read_b64 v[0:1], v106 offset:2040
	ds_read_b64 v[64:65], v106 offset:4352
	;; [unrolled: 1-line block ×3, first 2 shown]
.LBB0_17:
	s_or_b64 exec, exec, s[4:5]
	s_and_saveexec_b64 s[4:5], s[0:1]
	s_cbranch_execz .LBB0_20
; %bb.18:
	v_lshlrev_b32_e32 v92, 1, v112
	v_add_u32_e32 v66, 0x198, v92
	v_mov_b32_e32 v67, 0
	v_lshlrev_b64 v[76:77], 4, v[66:67]
	v_mov_b32_e32 v117, s9
	v_add_co_u32_e32 v66, vcc, s8, v76
	v_addc_co_u32_e32 v76, vcc, v117, v77, vcc
	s_movk_i32 s0, 0x1100
	v_add_co_u32_e32 v84, vcc, s0, v66
	v_addc_co_u32_e32 v85, vcc, 0, v76, vcc
	s_movk_i32 s10, 0x1000
	v_add_co_u32_e32 v86, vcc, s10, v66
	v_addc_co_u32_e32 v87, vcc, 0, v76, vcc
	global_load_dwordx4 v[76:79], v[86:87], off offset:256
	global_load_dwordx4 v[80:83], v[84:85], off offset:16
	v_add_u32_e32 v66, 0x132, v92
	v_lshlrev_b64 v[84:85], 4, v[66:67]
	s_mov_b32 s4, 0xe8584caa
	v_add_co_u32_e32 v66, vcc, s8, v84
	v_addc_co_u32_e32 v89, vcc, v117, v85, vcc
	v_add_co_u32_e32 v84, vcc, s10, v66
	v_addc_co_u32_e32 v85, vcc, 0, v89, vcc
	;; [unrolled: 2-line block ×3, first 2 shown]
	v_add_u32_e32 v66, 0xcc, v92
	global_load_dwordx4 v[84:87], v[84:85], off offset:256
	v_lshlrev_b64 v[96:97], 4, v[66:67]
	global_load_dwordx4 v[88:91], v[88:89], off offset:16
	v_add_co_u32_e32 v66, vcc, s8, v96
	v_addc_co_u32_e32 v93, vcc, v117, v97, vcc
	v_add_co_u32_e32 v104, vcc, s0, v66
	v_addc_co_u32_e32 v105, vcc, 0, v93, vcc
	;; [unrolled: 2-line block ×3, first 2 shown]
	global_load_dwordx4 v[96:99], v[106:107], off offset:256
	global_load_dwordx4 v[100:103], v[104:105], off offset:16
	v_mov_b32_e32 v93, v67
	v_add_u32_e32 v66, 0x66, v92
	v_lshlrev_b64 v[113:114], 4, v[92:93]
	v_lshlrev_b64 v[92:93], 4, v[66:67]
	s_mov_b32 s5, 0x3febb67a
	v_add_co_u32_e32 v66, vcc, s8, v92
	v_addc_co_u32_e32 v104, vcc, v117, v93, vcc
	v_add_co_u32_e32 v92, vcc, s0, v66
	v_addc_co_u32_e32 v93, vcc, 0, v104, vcc
	;; [unrolled: 2-line block ×3, first 2 shown]
	global_load_dwordx4 v[104:107], v[115:116], off offset:256
	global_load_dwordx4 v[108:111], v[92:93], off offset:16
	v_add_co_u32_e32 v66, vcc, s8, v113
	v_addc_co_u32_e32 v113, vcc, v117, v114, vcc
	v_add_co_u32_e32 v92, vcc, s0, v66
	v_addc_co_u32_e32 v93, vcc, 0, v113, vcc
	;; [unrolled: 2-line block ×3, first 2 shown]
	global_load_dwordx4 v[113:116], v[121:122], off offset:256
	global_load_dwordx4 v[117:120], v[92:93], off offset:16
	v_mul_lo_u32 v66, s59, v70
	v_mul_lo_u32 v92, s58, v71
	v_mad_u64_u32 v[70:71], s[0:1], s58, v70, 0
	s_mov_b32 s7, 0xbfebb67a
	s_mov_b32 s6, s4
	v_add3_u32 v71, v71, v92, v66
	s_mov_b32 s1, 0xe2c4a689
	s_movk_i32 s11, 0x2000
	s_movk_i32 s0, 0x121
	s_waitcnt vmcnt(9)
	v_mul_f64 v[123:124], v[28:29], v[78:79]
	s_waitcnt vmcnt(8)
	v_mul_f64 v[125:126], v[94:95], v[82:83]
	s_waitcnt lgkmcnt(1)
	v_mul_f64 v[78:79], v[56:57], v[78:79]
	s_waitcnt lgkmcnt(0)
	v_mul_f64 v[82:83], v[74:75], v[82:83]
	v_fma_f64 v[56:57], v[56:57], v[76:77], v[123:124]
	v_fma_f64 v[74:75], v[74:75], v[80:81], v[125:126]
	v_fma_f64 v[28:29], v[28:29], v[76:77], -v[78:79]
	v_fma_f64 v[78:79], v[94:95], v[80:81], -v[82:83]
	v_add_f64 v[76:77], v[56:57], v[74:75]
	s_waitcnt vmcnt(7)
	v_mul_f64 v[80:81], v[54:55], v[86:87]
	v_add_f64 v[82:83], v[28:29], v[78:79]
	v_mul_f64 v[86:87], v[26:27], v[86:87]
	s_waitcnt vmcnt(6)
	v_mul_f64 v[92:93], v[24:25], v[90:91]
	v_mul_f64 v[90:91], v[52:53], v[90:91]
	v_add_f64 v[94:95], v[28:29], -v[78:79]
	v_fma_f64 v[76:77], v[76:77], -0.5, v[34:35]
	v_add_f64 v[34:35], v[34:35], v[56:57]
	v_add_f64 v[56:57], v[56:57], -v[74:75]
	v_fma_f64 v[82:83], v[82:83], -0.5, v[6:7]
	v_fma_f64 v[86:87], v[54:55], v[84:85], v[86:87]
	v_fma_f64 v[92:93], v[52:53], v[88:89], v[92:93]
	v_fma_f64 v[80:81], v[26:27], v[84:85], -v[80:81]
	v_fma_f64 v[84:85], v[24:25], v[88:89], -v[90:91]
	v_add_f64 v[6:7], v[6:7], v[28:29]
	s_waitcnt vmcnt(5)
	v_mul_f64 v[28:29], v[20:21], v[98:99]
	v_fma_f64 v[26:27], v[94:95], s[4:5], v[76:77]
	v_fma_f64 v[24:25], v[56:57], s[6:7], v[82:83]
	;; [unrolled: 1-line block ×3, first 2 shown]
	s_waitcnt vmcnt(4)
	v_mul_f64 v[56:57], v[22:23], v[102:103]
	v_fma_f64 v[54:55], v[94:95], s[6:7], v[76:77]
	v_add_f64 v[76:77], v[34:35], v[74:75]
	v_add_f64 v[34:35], v[86:87], v[92:93]
	;; [unrolled: 1-line block ×3, first 2 shown]
	v_mul_f64 v[88:89], v[44:45], v[98:99]
	v_mul_f64 v[90:91], v[50:51], v[102:103]
	v_fma_f64 v[28:29], v[44:45], v[96:97], v[28:29]
	v_fma_f64 v[56:57], v[50:51], v[100:101], v[56:57]
	v_add_f64 v[82:83], v[80:81], -v[84:85]
	v_fma_f64 v[34:35], v[34:35], -0.5, v[48:49]
	v_add_f64 v[48:49], v[48:49], v[86:87]
	v_fma_f64 v[44:45], v[74:75], -0.5, v[16:17]
	v_add_f64 v[86:87], v[86:87], -v[92:93]
	v_fma_f64 v[88:89], v[20:21], v[96:97], -v[88:89]
	v_fma_f64 v[90:91], v[22:23], v[100:101], -v[90:91]
	v_add_f64 v[74:75], v[6:7], v[78:79]
	v_add_f64 v[6:7], v[16:17], v[80:81]
	;; [unrolled: 1-line block ×3, first 2 shown]
	v_fma_f64 v[22:23], v[82:83], s[4:5], v[34:35]
	v_fma_f64 v[50:51], v[82:83], s[6:7], v[34:35]
	v_add_f64 v[80:81], v[48:49], v[92:93]
	v_fma_f64 v[20:21], v[86:87], s[6:7], v[44:45]
	v_add_f64 v[34:35], v[88:89], v[90:91]
	;; [unrolled: 2-line block ×3, first 2 shown]
	v_add_f64 v[6:7], v[88:89], -v[90:91]
	v_fma_f64 v[16:17], v[16:17], -0.5, v[46:47]
	s_waitcnt vmcnt(3)
	v_mul_f64 v[82:83], v[18:19], v[106:107]
	s_waitcnt vmcnt(2)
	v_mul_f64 v[86:87], v[12:13], v[110:111]
	v_add_f64 v[46:47], v[46:47], v[28:29]
	v_fma_f64 v[34:35], v[34:35], -0.5, v[14:15]
	v_add_f64 v[28:29], v[28:29], -v[56:57]
	v_mul_f64 v[92:93], v[42:43], v[106:107]
	v_mul_f64 v[94:95], v[40:41], v[110:111]
	v_fma_f64 v[44:45], v[6:7], s[4:5], v[16:17]
	v_fma_f64 v[84:85], v[6:7], s[6:7], v[16:17]
	;; [unrolled: 1-line block ×4, first 2 shown]
	v_add_f64 v[16:17], v[46:47], v[56:57]
	v_fma_f64 v[42:43], v[28:29], s[6:7], v[34:35]
	v_fma_f64 v[18:19], v[18:19], v[104:105], -v[92:93]
	v_fma_f64 v[46:47], v[12:13], v[108:109], -v[94:95]
	s_waitcnt vmcnt(1)
	v_mul_f64 v[12:13], v[8:9], v[115:116]
	s_waitcnt vmcnt(0)
	v_mul_f64 v[56:57], v[10:11], v[119:120]
	v_fma_f64 v[82:83], v[28:29], s[4:5], v[34:35]
	v_add_f64 v[28:29], v[6:7], v[40:41]
	v_mul_f64 v[34:35], v[36:37], v[115:116]
	v_mul_f64 v[86:87], v[38:39], v[119:120]
	v_add_f64 v[14:15], v[14:15], v[88:89]
	v_add_f64 v[88:89], v[18:19], v[46:47]
	v_fma_f64 v[36:37], v[36:37], v[113:114], v[12:13]
	v_fma_f64 v[38:39], v[38:39], v[117:118], v[56:57]
	v_add_f64 v[12:13], v[18:19], -v[46:47]
	v_fma_f64 v[28:29], v[28:29], -0.5, v[32:33]
	v_fma_f64 v[34:35], v[8:9], v[113:114], -v[34:35]
	v_fma_f64 v[56:57], v[10:11], v[117:118], -v[86:87]
	v_add_f64 v[10:11], v[32:33], v[6:7]
	v_add_f64 v[14:15], v[14:15], v[90:91]
	v_fma_f64 v[86:87], v[88:89], -0.5, v[4:5]
	v_add_f64 v[88:89], v[36:37], v[38:39]
	v_add_f64 v[90:91], v[6:7], -v[40:41]
	v_fma_f64 v[8:9], v[12:13], s[4:5], v[28:29]
	v_fma_f64 v[12:13], v[12:13], s[6:7], v[28:29]
	v_add_f64 v[28:29], v[34:35], v[56:57]
	v_add_f64 v[4:5], v[4:5], v[18:19]
	;; [unrolled: 1-line block ×3, first 2 shown]
	v_add_f64 v[18:19], v[34:35], -v[56:57]
	v_fma_f64 v[40:41], v[88:89], -0.5, v[30:31]
	v_fma_f64 v[6:7], v[90:91], s[6:7], v[86:87]
	v_add_f64 v[88:89], v[30:31], v[36:37]
	v_fma_f64 v[10:11], v[90:91], s[4:5], v[86:87]
	v_fma_f64 v[28:29], v[28:29], -0.5, v[2:3]
	v_add_f64 v[86:87], v[36:37], -v[38:39]
	v_add_f64 v[2:3], v[2:3], v[34:35]
	v_add_f64 v[30:31], v[4:5], v[46:47]
	v_mul_hi_u32 v4, v112, s1
	v_fma_f64 v[36:37], v[18:19], s[4:5], v[40:41]
	v_add_f64 v[88:89], v[88:89], v[38:39]
	v_fma_f64 v[40:41], v[18:19], s[6:7], v[40:41]
	v_fma_f64 v[34:35], v[86:87], s[6:7], v[28:29]
	;; [unrolled: 1-line block ×3, first 2 shown]
	v_add_f64 v[86:87], v[2:3], v[56:57]
	v_lshrrev_b32_e32 v2, 8, v4
	v_mul_u32_u24_e32 v2, 0x121, v2
	v_sub_u32_e32 v18, v112, v2
	v_lshlrev_b64 v[2:3], 4, v[70:71]
	v_mov_b32_e32 v4, s15
	v_add_co_u32_e32 v5, vcc, s14, v2
	v_addc_co_u32_e32 v19, vcc, v4, v3, vcc
	v_lshlrev_b64 v[2:3], 4, v[68:69]
	v_add_co_u32_e32 v4, vcc, v5, v2
	v_addc_co_u32_e32 v5, vcc, v19, v3, vcc
	v_lshlrev_b32_e32 v2, 4, v18
	v_add_co_u32_e32 v2, vcc, v4, v2
	v_addc_co_u32_e32 v3, vcc, 0, v5, vcc
	v_add_co_u32_e32 v18, vcc, s10, v2
	v_addc_co_u32_e32 v19, vcc, 0, v3, vcc
	global_store_dwordx4 v[18:19], v[38:41], off offset:528
	v_add_u32_e32 v18, 51, v112
	v_mul_hi_u32 v19, v18, s1
	global_store_dwordx4 v[2:3], v[86:89], off
	v_add_co_u32_e32 v2, vcc, s11, v2
	v_addc_co_u32_e32 v3, vcc, 0, v3, vcc
	global_store_dwordx4 v[2:3], v[34:37], off offset:1056
	v_lshrrev_b32_e32 v2, 8, v19
	v_mul_u32_u24_e32 v3, 0x121, v2
	v_sub_u32_e32 v3, v18, v3
	s_movk_i32 s11, 0x363
	v_mad_u32_u24 v66, v2, s11, v3
	v_lshlrev_b64 v[2:3], 4, v[66:67]
	v_add_co_u32_e32 v2, vcc, v4, v2
	v_addc_co_u32_e32 v3, vcc, v5, v3, vcc
	global_store_dwordx4 v[2:3], v[30:33], off
	v_add_u32_e32 v2, 0x121, v66
	v_mov_b32_e32 v3, v67
	v_lshlrev_b64 v[2:3], 4, v[2:3]
	v_add_u32_e32 v66, 0x242, v66
	v_add_co_u32_e32 v2, vcc, v4, v2
	v_addc_co_u32_e32 v3, vcc, v5, v3, vcc
	global_store_dwordx4 v[2:3], v[10:13], off
	v_lshlrev_b64 v[2:3], 4, v[66:67]
	v_add_u32_e32 v10, 0x66, v112
	v_mul_hi_u32 v11, v10, s1
	v_add_co_u32_e32 v2, vcc, v4, v2
	v_addc_co_u32_e32 v3, vcc, v5, v3, vcc
	global_store_dwordx4 v[2:3], v[6:9], off
	v_lshrrev_b32_e32 v2, 8, v11
	v_mul_u32_u24_e32 v3, 0x121, v2
	v_sub_u32_e32 v3, v10, v3
	v_mad_u32_u24 v66, v2, s11, v3
	v_lshlrev_b64 v[2:3], 4, v[66:67]
	v_add_u32_e32 v6, 0x99, v112
	v_add_co_u32_e32 v2, vcc, v4, v2
	v_addc_co_u32_e32 v3, vcc, v5, v3, vcc
	global_store_dwordx4 v[2:3], v[14:17], off
	v_add_u32_e32 v2, 0x121, v66
	v_mov_b32_e32 v3, v67
	v_lshlrev_b64 v[2:3], 4, v[2:3]
	v_add_u32_e32 v66, 0x242, v66
	v_add_co_u32_e32 v2, vcc, v4, v2
	v_addc_co_u32_e32 v3, vcc, v5, v3, vcc
	global_store_dwordx4 v[2:3], v[82:85], off
	v_lshlrev_b64 v[2:3], 4, v[66:67]
	v_mul_hi_u32 v7, v6, s1
	v_add_co_u32_e32 v2, vcc, v4, v2
	v_addc_co_u32_e32 v3, vcc, v5, v3, vcc
	global_store_dwordx4 v[2:3], v[42:45], off
	v_lshrrev_b32_e32 v2, 8, v7
	v_mul_u32_u24_e32 v3, 0x121, v2
	v_sub_u32_e32 v3, v6, v3
	v_mad_u32_u24 v66, v2, s11, v3
	v_lshlrev_b64 v[2:3], 4, v[66:67]
	v_add_u32_e32 v6, 0xcc, v112
	v_add_co_u32_e32 v2, vcc, v4, v2
	v_addc_co_u32_e32 v3, vcc, v5, v3, vcc
	global_store_dwordx4 v[2:3], v[78:81], off
	v_add_u32_e32 v2, 0x121, v66
	v_mov_b32_e32 v3, v67
	v_lshlrev_b64 v[2:3], 4, v[2:3]
	v_add_u32_e32 v66, 0x242, v66
	v_add_co_u32_e32 v2, vcc, v4, v2
	v_addc_co_u32_e32 v3, vcc, v5, v3, vcc
	global_store_dwordx4 v[2:3], v[48:51], off
	v_lshlrev_b64 v[2:3], 4, v[66:67]
	v_mul_hi_u32 v7, v6, s1
	v_add_co_u32_e32 v2, vcc, v4, v2
	v_addc_co_u32_e32 v3, vcc, v5, v3, vcc
	global_store_dwordx4 v[2:3], v[20:23], off
	v_lshrrev_b32_e32 v2, 8, v7
	v_mul_u32_u24_e32 v3, 0x121, v2
	v_sub_u32_e32 v3, v6, v3
	v_mad_u32_u24 v66, v2, s11, v3
	v_lshlrev_b64 v[2:3], 4, v[66:67]
	v_add_co_u32_e32 v2, vcc, v4, v2
	v_addc_co_u32_e32 v3, vcc, v5, v3, vcc
	global_store_dwordx4 v[2:3], v[74:77], off
	v_add_u32_e32 v2, 0x121, v66
	v_mov_b32_e32 v3, v67
	v_lshlrev_b64 v[2:3], 4, v[2:3]
	v_add_u32_e32 v66, 0x242, v66
	v_add_co_u32_e32 v2, vcc, v4, v2
	v_addc_co_u32_e32 v3, vcc, v5, v3, vcc
	global_store_dwordx4 v[2:3], v[52:55], off
	v_lshlrev_b64 v[2:3], 4, v[66:67]
	v_add_co_u32_e32 v2, vcc, v4, v2
	v_addc_co_u32_e32 v3, vcc, v5, v3, vcc
	global_store_dwordx4 v[2:3], v[24:27], off
	v_add_u32_e32 v2, 0xff, v112
	v_cmp_gt_u32_e32 vcc, s0, v2
	s_and_b64 exec, exec, vcc
	s_cbranch_execz .LBB0_20
; %bb.19:
	v_not_b32_e32 v3, 33
	v_mov_b32_e32 v6, 0xff
	v_cndmask_b32_e64 v3, v3, v6, s[2:3]
	v_add_lshl_u32 v66, v112, v3, 1
	v_lshlrev_b64 v[6:7], 4, v[66:67]
	v_mov_b32_e32 v3, s9
	v_add_co_u32_e32 v6, vcc, s8, v6
	v_addc_co_u32_e32 v3, vcc, v3, v7, vcc
	v_add_co_u32_e32 v10, vcc, 0x1100, v6
	s_mov_b64 s[0:1], vcc
	v_add_co_u32_e32 v6, vcc, s10, v6
	v_addc_co_u32_e32 v7, vcc, 0, v3, vcc
	v_addc_co_u32_e64 v11, vcc, 0, v3, s[0:1]
	global_load_dwordx4 v[6:9], v[6:7], off offset:256
	v_mov_b32_e32 v3, v67
	global_load_dwordx4 v[10:13], v[10:11], off offset:16
	v_lshlrev_b64 v[2:3], 4, v[2:3]
	v_add_u32_e32 v66, 0x220, v112
	v_add_co_u32_e32 v18, vcc, v4, v2
	v_addc_co_u32_e32 v19, vcc, v5, v3, vcc
	v_lshlrev_b64 v[22:23], 4, v[66:67]
	v_add_u32_e32 v66, 0x341, v112
	v_lshlrev_b64 v[24:25], 4, v[66:67]
	s_waitcnt vmcnt(1)
	v_mul_f64 v[14:15], v[64:65], v[8:9]
	v_mul_f64 v[8:9], v[60:61], v[8:9]
	s_waitcnt vmcnt(0)
	v_mul_f64 v[16:17], v[72:73], v[12:13]
	v_mul_f64 v[12:13], v[62:63], v[12:13]
	v_fma_f64 v[14:15], v[60:61], v[6:7], -v[14:15]
	v_fma_f64 v[6:7], v[64:65], v[6:7], v[8:9]
	v_fma_f64 v[8:9], v[62:63], v[10:11], -v[16:17]
	v_fma_f64 v[10:11], v[72:73], v[10:11], v[12:13]
	v_add_f64 v[2:3], v[58:59], v[14:15]
	v_add_f64 v[12:13], v[14:15], v[8:9]
	;; [unrolled: 1-line block ×3, first 2 shown]
	v_add_f64 v[20:21], v[6:7], -v[10:11]
	v_add_f64 v[6:7], v[0:1], v[6:7]
	v_add_f64 v[14:15], v[14:15], -v[8:9]
	v_fma_f64 v[12:13], v[12:13], -0.5, v[58:59]
	v_fma_f64 v[16:17], v[16:17], -0.5, v[0:1]
	v_add_f64 v[0:1], v[2:3], v[8:9]
	v_add_f64 v[2:3], v[6:7], v[10:11]
	v_fma_f64 v[6:7], v[20:21], s[4:5], v[12:13]
	v_fma_f64 v[8:9], v[14:15], s[6:7], v[16:17]
	;; [unrolled: 1-line block ×4, first 2 shown]
	v_add_co_u32_e32 v14, vcc, v4, v22
	v_addc_co_u32_e32 v15, vcc, v5, v23, vcc
	v_add_co_u32_e32 v4, vcc, v4, v24
	v_addc_co_u32_e32 v5, vcc, v5, v25, vcc
	global_store_dwordx4 v[18:19], v[0:3], off
	global_store_dwordx4 v[14:15], v[6:9], off
	;; [unrolled: 1-line block ×3, first 2 shown]
.LBB0_20:
	s_endpgm
	.section	.rodata,"a",@progbits
	.p2align	6, 0x0
	.amdhsa_kernel fft_rtc_fwd_len867_factors_17_17_3_wgs_51_tpt_51_halfLds_dp_op_CI_CI_unitstride_sbrr_dirReg
		.amdhsa_group_segment_fixed_size 0
		.amdhsa_private_segment_fixed_size 0
		.amdhsa_kernarg_size 104
		.amdhsa_user_sgpr_count 6
		.amdhsa_user_sgpr_private_segment_buffer 1
		.amdhsa_user_sgpr_dispatch_ptr 0
		.amdhsa_user_sgpr_queue_ptr 0
		.amdhsa_user_sgpr_kernarg_segment_ptr 1
		.amdhsa_user_sgpr_dispatch_id 0
		.amdhsa_user_sgpr_flat_scratch_init 0
		.amdhsa_user_sgpr_private_segment_size 0
		.amdhsa_uses_dynamic_stack 0
		.amdhsa_system_sgpr_private_segment_wavefront_offset 0
		.amdhsa_system_sgpr_workgroup_id_x 1
		.amdhsa_system_sgpr_workgroup_id_y 0
		.amdhsa_system_sgpr_workgroup_id_z 0
		.amdhsa_system_sgpr_workgroup_info 0
		.amdhsa_system_vgpr_workitem_id 0
		.amdhsa_next_free_vgpr 247
		.amdhsa_next_free_sgpr 62
		.amdhsa_reserve_vcc 1
		.amdhsa_reserve_flat_scratch 0
		.amdhsa_float_round_mode_32 0
		.amdhsa_float_round_mode_16_64 0
		.amdhsa_float_denorm_mode_32 3
		.amdhsa_float_denorm_mode_16_64 3
		.amdhsa_dx10_clamp 1
		.amdhsa_ieee_mode 1
		.amdhsa_fp16_overflow 0
		.amdhsa_exception_fp_ieee_invalid_op 0
		.amdhsa_exception_fp_denorm_src 0
		.amdhsa_exception_fp_ieee_div_zero 0
		.amdhsa_exception_fp_ieee_overflow 0
		.amdhsa_exception_fp_ieee_underflow 0
		.amdhsa_exception_fp_ieee_inexact 0
		.amdhsa_exception_int_div_zero 0
	.end_amdhsa_kernel
	.text
.Lfunc_end0:
	.size	fft_rtc_fwd_len867_factors_17_17_3_wgs_51_tpt_51_halfLds_dp_op_CI_CI_unitstride_sbrr_dirReg, .Lfunc_end0-fft_rtc_fwd_len867_factors_17_17_3_wgs_51_tpt_51_halfLds_dp_op_CI_CI_unitstride_sbrr_dirReg
                                        ; -- End function
	.section	.AMDGPU.csdata,"",@progbits
; Kernel info:
; codeLenInByte = 16988
; NumSgprs: 66
; NumVgprs: 247
; ScratchSize: 0
; MemoryBound: 1
; FloatMode: 240
; IeeeMode: 1
; LDSByteSize: 0 bytes/workgroup (compile time only)
; SGPRBlocks: 8
; VGPRBlocks: 61
; NumSGPRsForWavesPerEU: 66
; NumVGPRsForWavesPerEU: 247
; Occupancy: 1
; WaveLimiterHint : 1
; COMPUTE_PGM_RSRC2:SCRATCH_EN: 0
; COMPUTE_PGM_RSRC2:USER_SGPR: 6
; COMPUTE_PGM_RSRC2:TRAP_HANDLER: 0
; COMPUTE_PGM_RSRC2:TGID_X_EN: 1
; COMPUTE_PGM_RSRC2:TGID_Y_EN: 0
; COMPUTE_PGM_RSRC2:TGID_Z_EN: 0
; COMPUTE_PGM_RSRC2:TIDIG_COMP_CNT: 0
	.type	__hip_cuid_7daaecf6e2f5c427,@object ; @__hip_cuid_7daaecf6e2f5c427
	.section	.bss,"aw",@nobits
	.globl	__hip_cuid_7daaecf6e2f5c427
__hip_cuid_7daaecf6e2f5c427:
	.byte	0                               ; 0x0
	.size	__hip_cuid_7daaecf6e2f5c427, 1

	.ident	"AMD clang version 19.0.0git (https://github.com/RadeonOpenCompute/llvm-project roc-6.4.0 25133 c7fe45cf4b819c5991fe208aaa96edf142730f1d)"
	.section	".note.GNU-stack","",@progbits
	.addrsig
	.addrsig_sym __hip_cuid_7daaecf6e2f5c427
	.amdgpu_metadata
---
amdhsa.kernels:
  - .args:
      - .actual_access:  read_only
        .address_space:  global
        .offset:         0
        .size:           8
        .value_kind:     global_buffer
      - .offset:         8
        .size:           8
        .value_kind:     by_value
      - .actual_access:  read_only
        .address_space:  global
        .offset:         16
        .size:           8
        .value_kind:     global_buffer
      - .actual_access:  read_only
        .address_space:  global
        .offset:         24
        .size:           8
        .value_kind:     global_buffer
      - .actual_access:  read_only
        .address_space:  global
        .offset:         32
        .size:           8
        .value_kind:     global_buffer
      - .offset:         40
        .size:           8
        .value_kind:     by_value
      - .actual_access:  read_only
        .address_space:  global
        .offset:         48
        .size:           8
        .value_kind:     global_buffer
      - .actual_access:  read_only
        .address_space:  global
        .offset:         56
        .size:           8
        .value_kind:     global_buffer
      - .offset:         64
        .size:           4
        .value_kind:     by_value
      - .actual_access:  read_only
        .address_space:  global
        .offset:         72
        .size:           8
        .value_kind:     global_buffer
      - .actual_access:  read_only
        .address_space:  global
        .offset:         80
        .size:           8
        .value_kind:     global_buffer
      - .actual_access:  read_only
        .address_space:  global
        .offset:         88
        .size:           8
        .value_kind:     global_buffer
      - .actual_access:  write_only
        .address_space:  global
        .offset:         96
        .size:           8
        .value_kind:     global_buffer
    .group_segment_fixed_size: 0
    .kernarg_segment_align: 8
    .kernarg_segment_size: 104
    .language:       OpenCL C
    .language_version:
      - 2
      - 0
    .max_flat_workgroup_size: 51
    .name:           fft_rtc_fwd_len867_factors_17_17_3_wgs_51_tpt_51_halfLds_dp_op_CI_CI_unitstride_sbrr_dirReg
    .private_segment_fixed_size: 0
    .sgpr_count:     66
    .sgpr_spill_count: 0
    .symbol:         fft_rtc_fwd_len867_factors_17_17_3_wgs_51_tpt_51_halfLds_dp_op_CI_CI_unitstride_sbrr_dirReg.kd
    .uniform_work_group_size: 1
    .uses_dynamic_stack: false
    .vgpr_count:     247
    .vgpr_spill_count: 0
    .wavefront_size: 64
amdhsa.target:   amdgcn-amd-amdhsa--gfx906
amdhsa.version:
  - 1
  - 2
...

	.end_amdgpu_metadata
